;; amdgpu-corpus repo=ROCm/rocSPARSE kind=compiled arch=gfx1100 opt=O3
	.text
	.amdgcn_target "amdgcn-amd-amdhsa--gfx1100"
	.amdhsa_code_object_version 6
	.section	.text._ZN9rocsparseL29bsrmm_general_blockdim_kernelILj32ELj32EiiffffEEvb20rocsparse_direction_T2_S2_llNS_24const_host_device_scalarIT6_EEPKT1_PKS2_PKT3_S2_PKT4_llS5_PT5_ll16rocsparse_order_21rocsparse_index_base_b,"axG",@progbits,_ZN9rocsparseL29bsrmm_general_blockdim_kernelILj32ELj32EiiffffEEvb20rocsparse_direction_T2_S2_llNS_24const_host_device_scalarIT6_EEPKT1_PKS2_PKT3_S2_PKT4_llS5_PT5_ll16rocsparse_order_21rocsparse_index_base_b,comdat
	.globl	_ZN9rocsparseL29bsrmm_general_blockdim_kernelILj32ELj32EiiffffEEvb20rocsparse_direction_T2_S2_llNS_24const_host_device_scalarIT6_EEPKT1_PKS2_PKT3_S2_PKT4_llS5_PT5_ll16rocsparse_order_21rocsparse_index_base_b ; -- Begin function _ZN9rocsparseL29bsrmm_general_blockdim_kernelILj32ELj32EiiffffEEvb20rocsparse_direction_T2_S2_llNS_24const_host_device_scalarIT6_EEPKT1_PKS2_PKT3_S2_PKT4_llS5_PT5_ll16rocsparse_order_21rocsparse_index_base_b
	.p2align	8
	.type	_ZN9rocsparseL29bsrmm_general_blockdim_kernelILj32ELj32EiiffffEEvb20rocsparse_direction_T2_S2_llNS_24const_host_device_scalarIT6_EEPKT1_PKS2_PKT3_S2_PKT4_llS5_PT5_ll16rocsparse_order_21rocsparse_index_base_b,@function
_ZN9rocsparseL29bsrmm_general_blockdim_kernelILj32ELj32EiiffffEEvb20rocsparse_direction_T2_S2_llNS_24const_host_device_scalarIT6_EEPKT1_PKS2_PKT3_S2_PKT4_llS5_PT5_ll16rocsparse_order_21rocsparse_index_base_b: ; @_ZN9rocsparseL29bsrmm_general_blockdim_kernelILj32ELj32EiiffffEEvb20rocsparse_direction_T2_S2_llNS_24const_host_device_scalarIT6_EEPKT1_PKS2_PKT3_S2_PKT4_llS5_PT5_ll16rocsparse_order_21rocsparse_index_base_b
; %bb.0:
	s_clause 0x2
	s_load_b128 s[4:7], s[0:1], 0x80
	s_load_b64 s[12:13], s[0:1], 0x20
	s_load_b64 s[28:29], s[0:1], 0x60
	s_mov_b32 s2, s15
	s_waitcnt lgkmcnt(0)
	s_bitcmp1_b32 s6, 0
	s_cselect_b32 s3, -1, 0
	s_delay_alu instid0(SALU_CYCLE_1)
	s_and_b32 vcc_lo, exec_lo, s3
	s_xor_b32 s3, s3, -1
	s_cbranch_vccnz .LBB0_2
; %bb.1:
	s_load_b32 s12, s[12:13], 0x0
.LBB0_2:
	s_and_not1_b32 vcc_lo, exec_lo, s3
	s_cbranch_vccnz .LBB0_4
; %bb.3:
	s_load_b32 s28, s[28:29], 0x0
.LBB0_4:
	s_waitcnt lgkmcnt(0)
	v_cmp_eq_f32_e64 s3, s12, 0
	v_cmp_eq_f32_e64 s6, s28, 1.0
	s_mov_b32 s13, 0
	s_delay_alu instid0(VALU_DEP_1) | instskip(NEXT) | instid1(SALU_CYCLE_1)
	s_and_b32 s3, s3, s6
	s_and_b32 vcc_lo, exec_lo, s3
	s_cbranch_vccnz .LBB0_57
; %bb.5:
	s_clause 0x1
	s_load_b128 s[24:27], s[0:1], 0x0
	s_load_b64 s[6:7], s[0:1], 0x28
	s_waitcnt lgkmcnt(0)
	s_cmp_lt_i32 s14, s26
	s_cselect_b32 s3, -1, 0
	s_cmp_ge_i32 s14, s26
	s_cbranch_scc0 .LBB0_8
; %bb.6:
	s_and_not1_b32 vcc_lo, exec_lo, s3
	s_mov_b32 s15, 0
	s_cbranch_vccz .LBB0_9
.LBB0_7:
	s_load_b32 s6, s[0:1], 0x40
	s_waitcnt lgkmcnt(0)
	s_cmp_lt_i32 s6, 1
	s_cbranch_scc0 .LBB0_10
	s_branch .LBB0_57
.LBB0_8:
	s_ashr_i32 s15, s14, 31
	s_delay_alu instid0(SALU_CYCLE_1) | instskip(NEXT) | instid1(SALU_CYCLE_1)
	s_lshl_b64 s[8:9], s[14:15], 2
	s_add_u32 s8, s6, s8
	s_addc_u32 s9, s7, s9
	s_load_b32 s8, s[8:9], 0x0
	s_waitcnt lgkmcnt(0)
	s_sub_i32 s13, s8, s5
	s_and_not1_b32 vcc_lo, exec_lo, s3
	s_mov_b32 s15, 0
	s_cbranch_vccnz .LBB0_7
.LBB0_9:
	s_ashr_i32 s15, s14, 31
	s_delay_alu instid0(SALU_CYCLE_1) | instskip(NEXT) | instid1(SALU_CYCLE_1)
	s_lshl_b64 s[8:9], s[14:15], 2
	s_add_u32 s6, s6, s8
	s_addc_u32 s7, s7, s9
	s_load_b32 s6, s[6:7], 0x4
	s_waitcnt lgkmcnt(0)
	s_sub_i32 s15, s6, s5
	s_load_b32 s6, s[0:1], 0x40
	s_waitcnt lgkmcnt(0)
	s_cmp_lt_i32 s6, 1
	s_cbranch_scc1 .LBB0_57
.LBB0_10:
	s_load_b128 s[8:11], s[0:1], 0x48
	v_bfe_u32 v1, v0, 10, 10
	s_clause 0x1
	s_load_b128 s[16:19], s[0:1], 0x30
	s_load_b128 s[20:23], s[0:1], 0x68
	v_and_b32_e32 v0, 0x3ff, v0
	s_bitcmp1_b32 s24, 0
	s_mul_i32 s7, s14, s6
	v_lshl_add_u32 v2, s2, 5, v1
	v_lshlrev_b32_e32 v6, 5, v1
	s_cselect_b32 s0, -1, 0
	v_lshlrev_b32_e32 v17, 2, v0
	s_xor_b32 s14, s0, -1
	v_ashrrev_i32_e32 v3, 31, v2
	v_add_lshl_u32 v7, v6, v0, 2
	v_cmp_gt_i32_e64 s0, s27, v2
	s_cmp_lt_i32 s13, s15
	v_lshl_add_u32 v18, v1, 7, 0x1000
	v_lshlrev_b64 v[13:14], 2, v[2:3]
	s_cselect_b32 s24, -1, 0
	s_cmp_lg_u32 s25, 0
	v_add_nc_u32_e32 v19, 0x400, v17
	s_waitcnt lgkmcnt(0)
	v_mul_lo_u32 v8, v3, s10
	v_mul_lo_u32 v9, v2, s11
	v_mad_u64_u32 v[4:5], null, v2, s10, 0
	v_mul_lo_u32 v6, v3, s22
	v_mul_lo_u32 v11, v2, s23
	v_mad_u64_u32 v[15:16], null, v2, s22, 0
	s_cselect_b32 s26, -1, 0
	v_add_nc_u32_e32 v20, 0x800, v17
	v_add3_u32 v5, v5, v9, v8
	v_add_co_u32 v9, vcc_lo, s8, v13
	v_add_co_ci_u32_e32 v10, vcc_lo, s9, v14, vcc_lo
	s_delay_alu instid0(VALU_DEP_3) | instskip(SKIP_4) | instid1(VALU_DEP_4)
	v_lshlrev_b64 v[2:3], 2, v[4:5]
	v_add3_u32 v16, v16, v11, v6
	v_mad_u64_u32 v[4:5], null, s13, s6, v[0:1]
	v_add_nc_u32_e32 v8, 0x1000, v7
	s_mov_b32 s25, 0
	v_add_co_u32 v11, vcc_lo, s8, v2
	v_add_co_ci_u32_e32 v12, vcc_lo, s9, v3, vcc_lo
	v_lshlrev_b64 v[2:3], 2, v[15:16]
	v_add_co_u32 v13, vcc_lo, s20, v13
	v_add_co_ci_u32_e32 v14, vcc_lo, s21, v14, vcc_lo
	s_and_b32 s8, s3, s0
	s_delay_alu instid0(VALU_DEP_3) | instskip(NEXT) | instid1(VALU_DEP_4)
	v_add_co_u32 v15, vcc_lo, s20, v2
	v_add_co_ci_u32_e32 v16, vcc_lo, s21, v3, vcc_lo
	v_mad_u64_u32 v[2:3], null, s6, v4, v[1:2]
	v_cmp_neq_f32_e64 s9, s28, 0
	s_cmp_lg_u32 s4, 1
	s_mul_i32 s21, s6, s6
	s_cselect_b32 s4, -1, 0
	s_lshl_b32 s20, s6, 5
	s_branch .LBB0_12
.LBB0_11:                               ;   in Loop: Header=BB0_12 Depth=1
	s_or_b32 exec_lo, exec_lo, s1
	v_add_nc_u32_e32 v2, s20, v2
	s_add_i32 s25, s25, 32
	s_delay_alu instid0(SALU_CYCLE_1)
	s_cmp_lt_i32 s25, s6
	s_cbranch_scc0 .LBB0_57
.LBB0_12:                               ; =>This Loop Header: Depth=1
                                        ;     Child Loop BB0_15 Depth 2
                                        ;       Child Loop BB0_17 Depth 3
	v_add_nc_u32_e32 v3, s25, v0
	v_mov_b32_e32 v21, 0
	s_and_not1_b32 vcc_lo, exec_lo, s24
	s_delay_alu instid0(VALU_DEP_2)
	v_cmp_gt_i32_e64 s1, s6, v3
	s_cbranch_vccnz .LBB0_45
; %bb.13:                               ;   in Loop: Header=BB0_12 Depth=1
	v_dual_mov_b32 v21, 0 :: v_dual_mov_b32 v22, v2
	s_mov_b32 s2, s13
	s_branch .LBB0_15
.LBB0_14:                               ;   in Loop: Header=BB0_15 Depth=2
	v_add_nc_u32_e32 v22, s21, v22
	s_add_i32 s2, s2, 1
	s_delay_alu instid0(SALU_CYCLE_1)
	s_cmp_ge_i32 s2, s15
	s_cbranch_scc1 .LBB0_45
.LBB0_15:                               ;   Parent Loop BB0_12 Depth=1
                                        ; =>  This Loop Header: Depth=2
                                        ;       Child Loop BB0_17 Depth 3
	s_ashr_i32 s3, s2, 31
	s_mov_b32 s27, 0
	s_lshl_b64 s[30:31], s[2:3], 2
	s_delay_alu instid0(SALU_CYCLE_1) | instskip(SKIP_4) | instid1(SALU_CYCLE_1)
	s_add_u32 s30, s16, s30
	s_addc_u32 s31, s17, s31
	s_load_b32 s3, s[30:31], 0x0
	s_waitcnt lgkmcnt(0)
	s_sub_i32 s3, s3, s5
	v_mad_u64_u32 v[4:5], null, s3, s6, v[0:1]
	s_mul_i32 s3, s2, s6
	s_branch .LBB0_17
.LBB0_16:                               ;   in Loop: Header=BB0_17 Depth=3
	s_or_b32 exec_lo, exec_lo, s30
	s_waitcnt vmcnt(0)
	ds_store_b32 v7, v6
	s_waitcnt lgkmcnt(0)
	s_waitcnt_vscnt null, 0x0
	s_barrier
	buffer_gl0_inv
	ds_load_2addr_b32 v[5:6], v17 offset1:32
	ds_load_b128 v[23:26], v18
	ds_load_2addr_b32 v[31:32], v17 offset0:64 offset1:96
	ds_load_b128 v[27:30], v18 offset:16
	ds_load_2addr_b32 v[33:34], v17 offset0:128 offset1:160
	v_add_nc_u32_e32 v35, 0xc00, v17
	s_add_i32 s27, s27, 32
	s_delay_alu instid0(SALU_CYCLE_1) | instskip(SKIP_2) | instid1(VALU_DEP_1)
	s_cmp_ge_i32 s27, s6
	s_waitcnt lgkmcnt(3)
	v_fmac_f32_e32 v21, v5, v23
	v_fmac_f32_e32 v21, v6, v24
	ds_load_2addr_b32 v[5:6], v17 offset0:192 offset1:224
	s_waitcnt lgkmcnt(3)
	v_fmac_f32_e32 v21, v31, v25
	s_delay_alu instid0(VALU_DEP_1) | instskip(SKIP_4) | instid1(VALU_DEP_1)
	v_fmac_f32_e32 v21, v32, v26
	ds_load_2addr_b32 v[31:32], v19 offset1:32
	ds_load_b128 v[23:26], v18 offset:32
	s_waitcnt lgkmcnt(3)
	v_fmac_f32_e32 v21, v33, v27
	v_fmac_f32_e32 v21, v34, v28
	ds_load_2addr_b32 v[33:34], v19 offset0:64 offset1:96
	s_waitcnt lgkmcnt(3)
	v_fmac_f32_e32 v21, v5, v29
	s_delay_alu instid0(VALU_DEP_1) | instskip(SKIP_4) | instid1(VALU_DEP_1)
	v_fmac_f32_e32 v21, v6, v30
	ds_load_b128 v[27:30], v18 offset:48
	ds_load_2addr_b32 v[5:6], v19 offset0:128 offset1:160
	s_waitcnt lgkmcnt(3)
	v_fmac_f32_e32 v21, v31, v23
	v_fmac_f32_e32 v21, v32, v24
	ds_load_2addr_b32 v[31:32], v19 offset0:192 offset1:224
	s_waitcnt lgkmcnt(3)
	v_fmac_f32_e32 v21, v33, v25
	s_delay_alu instid0(VALU_DEP_1) | instskip(SKIP_4) | instid1(VALU_DEP_1)
	v_fmac_f32_e32 v21, v34, v26
	ds_load_2addr_b32 v[33:34], v20 offset1:32
	ds_load_b128 v[23:26], v18 offset:64
	s_waitcnt lgkmcnt(3)
	v_fmac_f32_e32 v21, v5, v27
	v_fmac_f32_e32 v21, v6, v28
	ds_load_2addr_b32 v[5:6], v20 offset0:64 offset1:96
	s_waitcnt lgkmcnt(3)
	v_fmac_f32_e32 v21, v31, v29
	s_delay_alu instid0(VALU_DEP_1) | instskip(SKIP_4) | instid1(VALU_DEP_1)
	v_fmac_f32_e32 v21, v32, v30
	ds_load_2addr_b32 v[31:32], v20 offset0:128 offset1:160
	ds_load_b128 v[27:30], v18 offset:80
	s_waitcnt lgkmcnt(3)
	v_fmac_f32_e32 v21, v33, v23
	v_fmac_f32_e32 v21, v34, v24
	ds_load_2addr_b32 v[33:34], v20 offset0:192 offset1:224
	s_waitcnt lgkmcnt(3)
	v_fmac_f32_e32 v21, v5, v25
	s_delay_alu instid0(VALU_DEP_1) | instskip(SKIP_4) | instid1(VALU_DEP_1)
	v_fmac_f32_e32 v21, v6, v26
	ds_load_2addr_b32 v[5:6], v35 offset1:32
	ds_load_b128 v[23:26], v18 offset:96
	s_waitcnt lgkmcnt(3)
	v_fmac_f32_e32 v21, v31, v27
	v_fmac_f32_e32 v21, v32, v28
	ds_load_2addr_b32 v[31:32], v35 offset0:64 offset1:96
	s_waitcnt lgkmcnt(3)
	v_fmac_f32_e32 v21, v33, v29
	s_delay_alu instid0(VALU_DEP_1) | instskip(SKIP_4) | instid1(VALU_DEP_1)
	v_fmac_f32_e32 v21, v34, v30
	ds_load_b128 v[27:30], v18 offset:112
	ds_load_2addr_b32 v[33:34], v35 offset0:128 offset1:160
	s_waitcnt lgkmcnt(3)
	v_fmac_f32_e32 v21, v5, v23
	v_fmac_f32_e32 v21, v6, v24
	ds_load_2addr_b32 v[5:6], v35 offset0:192 offset1:224
	s_waitcnt lgkmcnt(0)
	s_barrier
	buffer_gl0_inv
	v_fmac_f32_e32 v21, v31, v25
	s_delay_alu instid0(VALU_DEP_1) | instskip(NEXT) | instid1(VALU_DEP_1)
	v_fmac_f32_e32 v21, v32, v26
	v_fmac_f32_e32 v21, v33, v27
	s_delay_alu instid0(VALU_DEP_1) | instskip(NEXT) | instid1(VALU_DEP_1)
	v_fmac_f32_e32 v21, v34, v28
	v_fmac_f32_e32 v21, v5, v29
	s_delay_alu instid0(VALU_DEP_1)
	v_fmac_f32_e32 v21, v6, v30
	s_cbranch_scc1 .LBB0_14
.LBB0_17:                               ;   Parent Loop BB0_12 Depth=1
                                        ;     Parent Loop BB0_15 Depth=2
                                        ; =>    This Inner Loop Header: Depth=3
	s_and_b32 vcc_lo, exec_lo, s14
	s_cbranch_vccz .LBB0_23
; %bb.18:                               ;   in Loop: Header=BB0_17 Depth=3
	s_mov_b32 s30, 0
	s_mov_b32 s29, 0
                                        ; implicit-def: $vgpr5_vgpr6
	s_and_saveexec_b32 s31, s0
	s_cbranch_execz .LBB0_22
; %bb.19:                               ;   in Loop: Header=BB0_17 Depth=3
	v_add_nc_u32_e32 v5, s27, v0
	s_delay_alu instid0(VALU_DEP_1) | instskip(SKIP_1) | instid1(SALU_CYCLE_1)
	v_cmp_gt_i32_e32 vcc_lo, s6, v5
                                        ; implicit-def: $vgpr5_vgpr6
	s_and_saveexec_b32 s33, vcc_lo
	s_xor_b32 s33, exec_lo, s33
; %bb.20:                               ;   in Loop: Header=BB0_17 Depth=3
	v_add_nc_u32_e32 v23, s27, v4
	s_mov_b32 s29, exec_lo
	s_delay_alu instid0(VALU_DEP_1) | instskip(SKIP_2) | instid1(VALU_DEP_3)
	v_ashrrev_i32_e32 v24, 31, v23
	v_mul_lo_u32 v25, v23, s11
	v_mad_u64_u32 v[5:6], null, v23, s10, 0
	v_mul_lo_u32 v23, v24, s10
	s_delay_alu instid0(VALU_DEP_1) | instskip(NEXT) | instid1(VALU_DEP_1)
	v_add3_u32 v6, v6, v25, v23
	v_lshlrev_b64 v[5:6], 2, v[5:6]
	s_delay_alu instid0(VALU_DEP_1) | instskip(NEXT) | instid1(VALU_DEP_2)
	v_add_co_u32 v5, vcc_lo, v9, v5
	v_add_co_ci_u32_e32 v6, vcc_lo, v10, v6, vcc_lo
; %bb.21:                               ;   in Loop: Header=BB0_17 Depth=3
	s_or_b32 exec_lo, exec_lo, s33
	s_delay_alu instid0(SALU_CYCLE_1)
	s_and_b32 s29, s29, exec_lo
.LBB0_22:                               ;   in Loop: Header=BB0_17 Depth=3
	s_or_b32 exec_lo, exec_lo, s31
	s_delay_alu instid0(SALU_CYCLE_1)
	s_and_b32 vcc_lo, exec_lo, s30
	s_cbranch_vccnz .LBB0_24
	s_branch .LBB0_29
.LBB0_23:                               ;   in Loop: Header=BB0_17 Depth=3
	s_mov_b32 s30, -1
	s_mov_b32 s29, 0
                                        ; implicit-def: $vgpr5_vgpr6
	s_cbranch_execz .LBB0_29
.LBB0_24:                               ;   in Loop: Header=BB0_17 Depth=3
                                        ; implicit-def: $vgpr5_vgpr6
	s_and_saveexec_b32 s30, s0
	s_cbranch_execz .LBB0_28
; %bb.25:                               ;   in Loop: Header=BB0_17 Depth=3
	v_add_nc_u32_e32 v5, s27, v0
	s_mov_b32 s33, s29
	s_delay_alu instid0(VALU_DEP_1)
	v_cmp_gt_i32_e32 vcc_lo, s6, v5
                                        ; implicit-def: $vgpr5_vgpr6
	s_and_saveexec_b32 s31, vcc_lo
; %bb.26:                               ;   in Loop: Header=BB0_17 Depth=3
	v_add_nc_u32_e32 v5, s27, v4
	s_or_b32 s33, s29, exec_lo
	s_delay_alu instid0(VALU_DEP_1) | instskip(NEXT) | instid1(VALU_DEP_1)
	v_ashrrev_i32_e32 v6, 31, v5
	v_lshlrev_b64 v[5:6], 2, v[5:6]
	s_delay_alu instid0(VALU_DEP_1) | instskip(NEXT) | instid1(VALU_DEP_2)
	v_add_co_u32 v5, vcc_lo, v11, v5
	v_add_co_ci_u32_e32 v6, vcc_lo, v12, v6, vcc_lo
; %bb.27:                               ;   in Loop: Header=BB0_17 Depth=3
	s_or_b32 exec_lo, exec_lo, s31
	s_delay_alu instid0(SALU_CYCLE_1) | instskip(SKIP_1) | instid1(SALU_CYCLE_1)
	s_and_not1_b32 s29, s29, exec_lo
	s_and_b32 s31, s33, exec_lo
	s_or_b32 s29, s29, s31
.LBB0_28:                               ;   in Loop: Header=BB0_17 Depth=3
	s_or_b32 exec_lo, exec_lo, s30
	s_mov_b32 s30, 0
.LBB0_29:                               ;   in Loop: Header=BB0_17 Depth=3
	s_delay_alu instid0(SALU_CYCLE_1)
	v_mov_b32_e32 v23, s30
	s_and_saveexec_b32 s30, s29
	s_cbranch_execnz .LBB0_37
; %bb.30:                               ;   in Loop: Header=BB0_17 Depth=3
	s_or_b32 exec_lo, exec_lo, s30
	s_delay_alu instid0(SALU_CYCLE_1)
	s_and_b32 vcc_lo, exec_lo, s26
	ds_store_b32 v8, v23
	s_cbranch_vccz .LBB0_38
.LBB0_31:                               ;   in Loop: Header=BB0_17 Depth=3
	s_mov_b32 s30, 0
	s_mov_b32 s29, 0
                                        ; implicit-def: $vgpr5
	s_and_saveexec_b32 s31, s1
	s_cbranch_execz .LBB0_35
; %bb.32:                               ;   in Loop: Header=BB0_17 Depth=3
	v_add_nc_u32_e32 v6, s27, v1
	s_mov_b32 s33, exec_lo
                                        ; implicit-def: $vgpr5
	s_delay_alu instid0(VALU_DEP_1)
	v_cmpx_gt_i32_e64 s6, v6
	s_xor_b32 s33, exec_lo, s33
; %bb.33:                               ;   in Loop: Header=BB0_17 Depth=3
	v_add_nc_u32_e32 v23, s3, v6
	s_mov_b32 s29, exec_lo
	s_delay_alu instid0(VALU_DEP_1)
	v_mad_u64_u32 v[5:6], null, v23, s6, v[3:4]
; %bb.34:                               ;   in Loop: Header=BB0_17 Depth=3
	s_or_b32 exec_lo, exec_lo, s33
	s_delay_alu instid0(SALU_CYCLE_1)
	s_and_b32 s29, s29, exec_lo
.LBB0_35:                               ;   in Loop: Header=BB0_17 Depth=3
	s_or_b32 exec_lo, exec_lo, s31
	s_delay_alu instid0(SALU_CYCLE_1)
	s_and_b32 vcc_lo, exec_lo, s30
	s_cbranch_vccnz .LBB0_39
.LBB0_36:                               ;   in Loop: Header=BB0_17 Depth=3
	v_mov_b32_e32 v6, s30
	s_and_saveexec_b32 s30, s29
	s_cbranch_execz .LBB0_16
	s_branch .LBB0_44
.LBB0_37:                               ;   in Loop: Header=BB0_17 Depth=3
	global_load_b32 v23, v[5:6], off
	s_or_b32 exec_lo, exec_lo, s30
	s_delay_alu instid0(SALU_CYCLE_1)
	s_and_b32 vcc_lo, exec_lo, s26
	s_waitcnt vmcnt(0)
	ds_store_b32 v8, v23
	s_cbranch_vccnz .LBB0_31
.LBB0_38:                               ;   in Loop: Header=BB0_17 Depth=3
	s_mov_b32 s30, -1
	s_mov_b32 s29, 0
                                        ; implicit-def: $vgpr5
	s_cbranch_execz .LBB0_36
.LBB0_39:                               ;   in Loop: Header=BB0_17 Depth=3
                                        ; implicit-def: $vgpr5
	s_and_saveexec_b32 s30, s1
	s_cbranch_execz .LBB0_43
; %bb.40:                               ;   in Loop: Header=BB0_17 Depth=3
	v_add_nc_u32_e32 v5, s27, v1
	s_mov_b32 s31, s29
	s_delay_alu instid0(VALU_DEP_1)
	v_cmp_gt_i32_e32 vcc_lo, s6, v5
                                        ; implicit-def: $vgpr5
	s_and_saveexec_b32 s33, vcc_lo
; %bb.41:                               ;   in Loop: Header=BB0_17 Depth=3
	v_add_nc_u32_e32 v5, s27, v22
	s_or_b32 s31, s29, exec_lo
; %bb.42:                               ;   in Loop: Header=BB0_17 Depth=3
	s_or_b32 exec_lo, exec_lo, s33
	s_delay_alu instid0(SALU_CYCLE_1) | instskip(SKIP_1) | instid1(SALU_CYCLE_1)
	s_and_not1_b32 s29, s29, exec_lo
	s_and_b32 s31, s31, exec_lo
	s_or_b32 s29, s29, s31
.LBB0_43:                               ;   in Loop: Header=BB0_17 Depth=3
	s_or_b32 exec_lo, exec_lo, s30
	s_mov_b32 s30, 0
	s_delay_alu instid0(SALU_CYCLE_1)
	v_mov_b32_e32 v6, s30
	s_and_saveexec_b32 s30, s29
	s_cbranch_execz .LBB0_16
.LBB0_44:                               ;   in Loop: Header=BB0_17 Depth=3
	v_ashrrev_i32_e32 v6, 31, v5
	s_delay_alu instid0(VALU_DEP_1) | instskip(NEXT) | instid1(VALU_DEP_1)
	v_lshlrev_b64 v[5:6], 2, v[5:6]
	v_add_co_u32 v5, vcc_lo, s18, v5
	s_delay_alu instid0(VALU_DEP_2)
	v_add_co_ci_u32_e32 v6, vcc_lo, s19, v6, vcc_lo
	global_load_b32 v6, v[5:6], off
	s_branch .LBB0_16
.LBB0_45:                               ;   in Loop: Header=BB0_12 Depth=1
	v_cmp_gt_i32_e32 vcc_lo, s6, v3
	s_and_b32 s2, s8, vcc_lo
	s_delay_alu instid0(SALU_CYCLE_1)
	s_and_saveexec_b32 s1, s2
	s_cbranch_execz .LBB0_11
; %bb.46:                               ;   in Loop: Header=BB0_12 Depth=1
	v_add_nc_u32_e32 v3, s7, v3
	s_and_b32 vcc_lo, exec_lo, s9
	s_delay_alu instid0(VALU_DEP_1)
	v_ashrrev_i32_e32 v4, 31, v3
	s_cbranch_vccz .LBB0_52
; %bb.47:                               ;   in Loop: Header=BB0_12 Depth=1
	s_and_b32 vcc_lo, exec_lo, s4
	s_mov_b32 s2, -1
	s_cbranch_vccz .LBB0_49
; %bb.48:                               ;   in Loop: Header=BB0_12 Depth=1
	v_mul_lo_u32 v22, v4, s22
	v_mul_lo_u32 v23, v3, s23
	v_mad_u64_u32 v[5:6], null, v3, s22, 0
	s_mov_b32 s2, 0
	s_delay_alu instid0(VALU_DEP_1) | instskip(SKIP_1) | instid1(VALU_DEP_2)
	v_add3_u32 v6, v6, v23, v22
	v_mul_f32_e32 v23, s12, v21
	v_lshlrev_b64 v[5:6], 2, v[5:6]
	s_delay_alu instid0(VALU_DEP_1) | instskip(NEXT) | instid1(VALU_DEP_2)
	v_add_co_u32 v5, vcc_lo, v13, v5
	v_add_co_ci_u32_e32 v6, vcc_lo, v14, v6, vcc_lo
	global_load_b32 v22, v[5:6], off
	s_waitcnt vmcnt(0)
	v_fmac_f32_e32 v23, s28, v22
	global_store_b32 v[5:6], v23, off
.LBB0_49:                               ;   in Loop: Header=BB0_12 Depth=1
	s_and_not1_b32 vcc_lo, exec_lo, s2
	s_cbranch_vccnz .LBB0_51
; %bb.50:                               ;   in Loop: Header=BB0_12 Depth=1
	v_lshlrev_b64 v[5:6], 2, v[3:4]
	v_mul_f32_e32 v23, s12, v21
	s_delay_alu instid0(VALU_DEP_2) | instskip(NEXT) | instid1(VALU_DEP_3)
	v_add_co_u32 v5, vcc_lo, v15, v5
	v_add_co_ci_u32_e32 v6, vcc_lo, v16, v6, vcc_lo
	global_load_b32 v22, v[5:6], off
	s_waitcnt vmcnt(0)
	v_fmac_f32_e32 v23, s28, v22
	global_store_b32 v[5:6], v23, off
.LBB0_51:                               ;   in Loop: Header=BB0_12 Depth=1
	s_cbranch_execnz .LBB0_11
	s_branch .LBB0_53
.LBB0_52:                               ;   in Loop: Header=BB0_12 Depth=1
.LBB0_53:                               ;   in Loop: Header=BB0_12 Depth=1
	v_mul_f32_e32 v5, s12, v21
	s_and_b32 vcc_lo, exec_lo, s4
	s_mov_b32 s2, -1
	s_cbranch_vccz .LBB0_55
; %bb.54:                               ;   in Loop: Header=BB0_12 Depth=1
	v_mul_lo_u32 v6, v4, s22
	v_mul_lo_u32 v23, v3, s23
	v_mad_u64_u32 v[21:22], null, v3, s22, 0
	s_mov_b32 s2, 0
	s_delay_alu instid0(VALU_DEP_1) | instskip(NEXT) | instid1(VALU_DEP_1)
	v_add3_u32 v22, v22, v23, v6
	v_lshlrev_b64 v[21:22], 2, v[21:22]
	s_delay_alu instid0(VALU_DEP_1) | instskip(NEXT) | instid1(VALU_DEP_2)
	v_add_co_u32 v21, vcc_lo, v13, v21
	v_add_co_ci_u32_e32 v22, vcc_lo, v14, v22, vcc_lo
	global_store_b32 v[21:22], v5, off
.LBB0_55:                               ;   in Loop: Header=BB0_12 Depth=1
	s_and_not1_b32 vcc_lo, exec_lo, s2
	s_cbranch_vccnz .LBB0_11
; %bb.56:                               ;   in Loop: Header=BB0_12 Depth=1
	v_lshlrev_b64 v[3:4], 2, v[3:4]
	s_delay_alu instid0(VALU_DEP_1) | instskip(NEXT) | instid1(VALU_DEP_2)
	v_add_co_u32 v3, vcc_lo, v15, v3
	v_add_co_ci_u32_e32 v4, vcc_lo, v16, v4, vcc_lo
	global_store_b32 v[3:4], v5, off
	s_branch .LBB0_11
.LBB0_57:
	s_nop 0
	s_sendmsg sendmsg(MSG_DEALLOC_VGPRS)
	s_endpgm
	.section	.rodata,"a",@progbits
	.p2align	6, 0x0
	.amdhsa_kernel _ZN9rocsparseL29bsrmm_general_blockdim_kernelILj32ELj32EiiffffEEvb20rocsparse_direction_T2_S2_llNS_24const_host_device_scalarIT6_EEPKT1_PKS2_PKT3_S2_PKT4_llS5_PT5_ll16rocsparse_order_21rocsparse_index_base_b
		.amdhsa_group_segment_fixed_size 8192
		.amdhsa_private_segment_fixed_size 0
		.amdhsa_kernarg_size 140
		.amdhsa_user_sgpr_count 14
		.amdhsa_user_sgpr_dispatch_ptr 0
		.amdhsa_user_sgpr_queue_ptr 0
		.amdhsa_user_sgpr_kernarg_segment_ptr 1
		.amdhsa_user_sgpr_dispatch_id 0
		.amdhsa_user_sgpr_private_segment_size 0
		.amdhsa_wavefront_size32 1
		.amdhsa_uses_dynamic_stack 0
		.amdhsa_enable_private_segment 0
		.amdhsa_system_sgpr_workgroup_id_x 1
		.amdhsa_system_sgpr_workgroup_id_y 1
		.amdhsa_system_sgpr_workgroup_id_z 0
		.amdhsa_system_sgpr_workgroup_info 0
		.amdhsa_system_vgpr_workitem_id 1
		.amdhsa_next_free_vgpr 36
		.amdhsa_next_free_sgpr 34
		.amdhsa_reserve_vcc 1
		.amdhsa_float_round_mode_32 0
		.amdhsa_float_round_mode_16_64 0
		.amdhsa_float_denorm_mode_32 3
		.amdhsa_float_denorm_mode_16_64 3
		.amdhsa_dx10_clamp 1
		.amdhsa_ieee_mode 1
		.amdhsa_fp16_overflow 0
		.amdhsa_workgroup_processor_mode 1
		.amdhsa_memory_ordered 1
		.amdhsa_forward_progress 0
		.amdhsa_shared_vgpr_count 0
		.amdhsa_exception_fp_ieee_invalid_op 0
		.amdhsa_exception_fp_denorm_src 0
		.amdhsa_exception_fp_ieee_div_zero 0
		.amdhsa_exception_fp_ieee_overflow 0
		.amdhsa_exception_fp_ieee_underflow 0
		.amdhsa_exception_fp_ieee_inexact 0
		.amdhsa_exception_int_div_zero 0
	.end_amdhsa_kernel
	.section	.text._ZN9rocsparseL29bsrmm_general_blockdim_kernelILj32ELj32EiiffffEEvb20rocsparse_direction_T2_S2_llNS_24const_host_device_scalarIT6_EEPKT1_PKS2_PKT3_S2_PKT4_llS5_PT5_ll16rocsparse_order_21rocsparse_index_base_b,"axG",@progbits,_ZN9rocsparseL29bsrmm_general_blockdim_kernelILj32ELj32EiiffffEEvb20rocsparse_direction_T2_S2_llNS_24const_host_device_scalarIT6_EEPKT1_PKS2_PKT3_S2_PKT4_llS5_PT5_ll16rocsparse_order_21rocsparse_index_base_b,comdat
.Lfunc_end0:
	.size	_ZN9rocsparseL29bsrmm_general_blockdim_kernelILj32ELj32EiiffffEEvb20rocsparse_direction_T2_S2_llNS_24const_host_device_scalarIT6_EEPKT1_PKS2_PKT3_S2_PKT4_llS5_PT5_ll16rocsparse_order_21rocsparse_index_base_b, .Lfunc_end0-_ZN9rocsparseL29bsrmm_general_blockdim_kernelILj32ELj32EiiffffEEvb20rocsparse_direction_T2_S2_llNS_24const_host_device_scalarIT6_EEPKT1_PKS2_PKT3_S2_PKT4_llS5_PT5_ll16rocsparse_order_21rocsparse_index_base_b
                                        ; -- End function
	.section	.AMDGPU.csdata,"",@progbits
; Kernel info:
; codeLenInByte = 2212
; NumSgprs: 36
; NumVgprs: 36
; ScratchSize: 0
; MemoryBound: 0
; FloatMode: 240
; IeeeMode: 1
; LDSByteSize: 8192 bytes/workgroup (compile time only)
; SGPRBlocks: 4
; VGPRBlocks: 4
; NumSGPRsForWavesPerEU: 36
; NumVGPRsForWavesPerEU: 36
; Occupancy: 16
; WaveLimiterHint : 0
; COMPUTE_PGM_RSRC2:SCRATCH_EN: 0
; COMPUTE_PGM_RSRC2:USER_SGPR: 14
; COMPUTE_PGM_RSRC2:TRAP_HANDLER: 0
; COMPUTE_PGM_RSRC2:TGID_X_EN: 1
; COMPUTE_PGM_RSRC2:TGID_Y_EN: 1
; COMPUTE_PGM_RSRC2:TGID_Z_EN: 0
; COMPUTE_PGM_RSRC2:TIDIG_COMP_CNT: 1
	.section	.text._ZN9rocsparseL29bsrmm_general_blockdim_kernelILj32ELj32EliffffEEvb20rocsparse_direction_T2_S2_llNS_24const_host_device_scalarIT6_EEPKT1_PKS2_PKT3_S2_PKT4_llS5_PT5_ll16rocsparse_order_21rocsparse_index_base_b,"axG",@progbits,_ZN9rocsparseL29bsrmm_general_blockdim_kernelILj32ELj32EliffffEEvb20rocsparse_direction_T2_S2_llNS_24const_host_device_scalarIT6_EEPKT1_PKS2_PKT3_S2_PKT4_llS5_PT5_ll16rocsparse_order_21rocsparse_index_base_b,comdat
	.globl	_ZN9rocsparseL29bsrmm_general_blockdim_kernelILj32ELj32EliffffEEvb20rocsparse_direction_T2_S2_llNS_24const_host_device_scalarIT6_EEPKT1_PKS2_PKT3_S2_PKT4_llS5_PT5_ll16rocsparse_order_21rocsparse_index_base_b ; -- Begin function _ZN9rocsparseL29bsrmm_general_blockdim_kernelILj32ELj32EliffffEEvb20rocsparse_direction_T2_S2_llNS_24const_host_device_scalarIT6_EEPKT1_PKS2_PKT3_S2_PKT4_llS5_PT5_ll16rocsparse_order_21rocsparse_index_base_b
	.p2align	8
	.type	_ZN9rocsparseL29bsrmm_general_blockdim_kernelILj32ELj32EliffffEEvb20rocsparse_direction_T2_S2_llNS_24const_host_device_scalarIT6_EEPKT1_PKS2_PKT3_S2_PKT4_llS5_PT5_ll16rocsparse_order_21rocsparse_index_base_b,@function
_ZN9rocsparseL29bsrmm_general_blockdim_kernelILj32ELj32EliffffEEvb20rocsparse_direction_T2_S2_llNS_24const_host_device_scalarIT6_EEPKT1_PKS2_PKT3_S2_PKT4_llS5_PT5_ll16rocsparse_order_21rocsparse_index_base_b: ; @_ZN9rocsparseL29bsrmm_general_blockdim_kernelILj32ELj32EliffffEEvb20rocsparse_direction_T2_S2_llNS_24const_host_device_scalarIT6_EEPKT1_PKS2_PKT3_S2_PKT4_llS5_PT5_ll16rocsparse_order_21rocsparse_index_base_b
; %bb.0:
	s_clause 0x2
	s_load_b128 s[4:7], s[0:1], 0x80
	s_load_b64 s[12:13], s[0:1], 0x20
	s_load_b64 s[28:29], s[0:1], 0x60
	s_mov_b32 s2, s15
	s_waitcnt lgkmcnt(0)
	s_bitcmp1_b32 s6, 0
	s_cselect_b32 s3, -1, 0
	s_delay_alu instid0(SALU_CYCLE_1)
	s_and_b32 vcc_lo, exec_lo, s3
	s_xor_b32 s3, s3, -1
	s_cbranch_vccnz .LBB1_2
; %bb.1:
	s_load_b32 s12, s[12:13], 0x0
.LBB1_2:
	s_and_not1_b32 vcc_lo, exec_lo, s3
	s_cbranch_vccnz .LBB1_4
; %bb.3:
	s_load_b32 s28, s[28:29], 0x0
.LBB1_4:
	s_waitcnt lgkmcnt(0)
	v_cmp_eq_f32_e64 s3, s12, 0
	v_cmp_eq_f32_e64 s6, s28, 1.0
	s_delay_alu instid0(VALU_DEP_1) | instskip(NEXT) | instid1(SALU_CYCLE_1)
	s_and_b32 s3, s3, s6
	s_and_b32 vcc_lo, exec_lo, s3
	s_cbranch_vccnz .LBB1_53
; %bb.5:
	s_clause 0x1
	s_load_b128 s[24:27], s[0:1], 0x0
	s_load_b64 s[8:9], s[0:1], 0x28
	s_mov_b64 s[6:7], 0
	s_mov_b64 s[30:31], 0
	s_waitcnt lgkmcnt(0)
	s_cmp_lt_i32 s14, s26
	s_cselect_b32 s3, -1, 0
	s_cmp_ge_i32 s14, s26
	s_cbranch_scc0 .LBB1_8
; %bb.6:
	s_and_not1_b32 vcc_lo, exec_lo, s3
	s_cbranch_vccz .LBB1_9
.LBB1_7:
	s_load_b32 s13, s[0:1], 0x40
	s_waitcnt lgkmcnt(0)
	s_cmp_lt_i32 s13, 1
	s_cbranch_scc0 .LBB1_10
	s_branch .LBB1_53
.LBB1_8:
	s_ashr_i32 s15, s14, 31
	s_delay_alu instid0(SALU_CYCLE_1) | instskip(NEXT) | instid1(SALU_CYCLE_1)
	s_lshl_b64 s[10:11], s[14:15], 3
	s_add_u32 s10, s8, s10
	s_addc_u32 s11, s9, s11
	s_load_b64 s[10:11], s[10:11], 0x0
	s_waitcnt lgkmcnt(0)
	s_sub_u32 s30, s10, s5
	s_subb_u32 s31, s11, 0
	s_and_not1_b32 vcc_lo, exec_lo, s3
	s_cbranch_vccnz .LBB1_7
.LBB1_9:
	s_ashr_i32 s15, s14, 31
	s_delay_alu instid0(SALU_CYCLE_1) | instskip(NEXT) | instid1(SALU_CYCLE_1)
	s_lshl_b64 s[6:7], s[14:15], 3
	s_add_u32 s6, s8, s6
	s_addc_u32 s7, s9, s7
	s_load_b64 s[6:7], s[6:7], 0x8
	s_waitcnt lgkmcnt(0)
	s_sub_u32 s6, s6, s5
	s_subb_u32 s7, s7, 0
	s_load_b32 s13, s[0:1], 0x40
	s_waitcnt lgkmcnt(0)
	s_cmp_lt_i32 s13, 1
	s_cbranch_scc1 .LBB1_53
.LBB1_10:
	s_load_b128 s[8:11], s[0:1], 0x48
	v_bfe_u32 v6, v0, 10, 10
	s_clause 0x1
	s_load_b128 s[16:19], s[0:1], 0x30
	s_load_b128 s[20:23], s[0:1], 0x68
	v_and_b32_e32 v0, 0x3ff, v0
	s_bitcmp1_b32 s24, 0
	s_mul_i32 s14, s14, s13
	v_lshl_add_u32 v1, s2, 5, v6
	v_lshlrev_b32_e32 v5, 5, v6
	s_cselect_b32 s0, -1, 0
	v_lshl_add_u32 v18, v6, 7, 0x1000
	s_xor_b32 s24, s0, -1
	v_ashrrev_i32_e32 v2, 31, v1
	v_add_lshl_u32 v7, v5, v0, 2
	v_cmp_gt_i32_e64 s0, s27, v1
	s_cmp_lg_u32 s25, 0
	v_cmp_neq_f32_e64 s25, s28, 0
	v_lshlrev_b64 v[13:14], 2, v[1:2]
	s_cselect_b32 s26, -1, 0
	s_and_b32 s27, s3, s0
	s_cmp_lg_u32 s4, 1
	s_waitcnt lgkmcnt(0)
	v_mul_lo_u32 v8, v2, s10
	v_mul_lo_u32 v9, v1, s11
	v_mad_u64_u32 v[3:4], null, v1, s10, 0
	v_mul_lo_u32 v5, v2, s22
	v_mul_lo_u32 v11, v1, s23
	v_mad_u64_u32 v[15:16], null, v1, s22, 0
	s_mov_b32 s15, 0
	s_mul_i32 s4, s13, s13
	s_delay_alu instid0(VALU_DEP_4) | instskip(SKIP_2) | instid1(VALU_DEP_3)
	v_add3_u32 v4, v4, v9, v8
	v_add_co_u32 v9, vcc_lo, s8, v13
	v_add_co_ci_u32_e32 v10, vcc_lo, s9, v14, vcc_lo
	v_lshlrev_b64 v[1:2], 2, v[3:4]
	v_add3_u32 v16, v16, v11, v5
	v_add_nc_u32_e32 v8, 0x1000, v7
	s_delay_alu instid0(VALU_DEP_3) | instskip(NEXT) | instid1(VALU_DEP_4)
	v_add_co_u32 v11, vcc_lo, s8, v1
	v_add_co_ci_u32_e32 v12, vcc_lo, s9, v2, vcc_lo
	s_delay_alu instid0(VALU_DEP_4) | instskip(SKIP_3) | instid1(VALU_DEP_4)
	v_lshlrev_b64 v[1:2], 2, v[15:16]
	v_add_co_u32 v13, vcc_lo, s20, v13
	v_lshlrev_b32_e32 v15, 2, v0
	v_add_co_ci_u32_e32 v14, vcc_lo, s21, v14, vcc_lo
	v_add_co_u32 v16, vcc_lo, s20, v1
	v_cmp_lt_i64_e64 s8, s[30:31], s[6:7]
	v_add_co_ci_u32_e32 v17, vcc_lo, s21, v2, vcc_lo
	v_add_nc_u32_e32 v19, 0x400, v15
	v_add_nc_u32_e32 v20, 0x800, v15
	;; [unrolled: 1-line block ×3, first 2 shown]
	s_cselect_b32 s9, -1, 0
	s_branch .LBB1_12
.LBB1_11:                               ;   in Loop: Header=BB1_12 Depth=1
	s_or_b32 exec_lo, exec_lo, s1
	s_add_i32 s15, s15, 32
	s_delay_alu instid0(SALU_CYCLE_1)
	s_cmp_lt_i32 s15, s13
	s_cbranch_scc0 .LBB1_53
.LBB1_12:                               ; =>This Loop Header: Depth=1
                                        ;     Child Loop BB1_15 Depth 2
                                        ;       Child Loop BB1_17 Depth 3
	v_dual_mov_b32 v22, 0 :: v_dual_add_nc_u32 v23, s15, v0
	s_and_not1_b32 vcc_lo, exec_lo, s8
	s_delay_alu instid0(VALU_DEP_1)
	v_cmp_gt_i32_e64 s1, s13, v23
	s_cbranch_vccnz .LBB1_41
; %bb.13:                               ;   in Loop: Header=BB1_12 Depth=1
	v_mul_lo_u32 v24, v23, s13
	v_mov_b32_e32 v22, 0
	s_mov_b64 s[2:3], s[30:31]
	s_branch .LBB1_15
.LBB1_14:                               ;   in Loop: Header=BB1_15 Depth=2
	s_add_u32 s2, s2, 1
	s_addc_u32 s3, s3, 0
	s_delay_alu instid0(SALU_CYCLE_1) | instskip(NEXT) | instid1(VALU_DEP_1)
	v_cmp_ge_i64_e64 s20, s[2:3], s[6:7]
	s_and_b32 vcc_lo, exec_lo, s20
	s_cbranch_vccnz .LBB1_41
.LBB1_15:                               ;   Parent Loop BB1_12 Depth=1
                                        ; =>  This Loop Header: Depth=2
                                        ;       Child Loop BB1_17 Depth 3
	s_lshl_b64 s[20:21], s[2:3], 2
	s_mul_hi_u32 s29, s2, s4
	s_add_u32 s20, s16, s20
	s_addc_u32 s21, s17, s21
	s_load_b32 s20, s[20:21], 0x0
	s_mul_i32 s21, s3, s4
	s_delay_alu instid0(SALU_CYCLE_1)
	s_add_i32 s21, s29, s21
	s_waitcnt lgkmcnt(0)
	s_sub_i32 s29, s20, s5
	s_mul_i32 s20, s2, s4
	v_mad_u64_u32 v[1:2], null, s29, s13, v[0:1]
	s_lshl_b64 s[20:21], s[20:21], 2
	s_mov_b32 s29, 0
	s_add_u32 s20, s18, s20
	s_addc_u32 s21, s19, s21
	s_branch .LBB1_17
.LBB1_16:                               ;   in Loop: Header=BB1_17 Depth=3
	s_or_b32 exec_lo, exec_lo, s33
	s_waitcnt vmcnt(0)
	ds_store_b32 v7, v3
	s_waitcnt lgkmcnt(0)
	s_waitcnt_vscnt null, 0x0
	s_barrier
	buffer_gl0_inv
	ds_load_2addr_b32 v[29:30], v15 offset1:32
	ds_load_b128 v[2:5], v18
	ds_load_2addr_b32 v[31:32], v15 offset0:64 offset1:96
	ds_load_b128 v[25:28], v18 offset:16
	ds_load_2addr_b32 v[33:34], v15 offset0:128 offset1:160
	s_add_i32 s29, s29, 32
	s_delay_alu instid0(SALU_CYCLE_1) | instskip(SKIP_2) | instid1(VALU_DEP_1)
	s_cmp_ge_i32 s29, s13
	s_waitcnt lgkmcnt(3)
	v_fmac_f32_e32 v22, v29, v2
	v_fmac_f32_e32 v22, v30, v3
	ds_load_2addr_b32 v[29:30], v15 offset0:192 offset1:224
	s_waitcnt lgkmcnt(3)
	v_fmac_f32_e32 v22, v31, v4
	s_delay_alu instid0(VALU_DEP_1) | instskip(SKIP_4) | instid1(VALU_DEP_1)
	v_fmac_f32_e32 v22, v32, v5
	ds_load_2addr_b32 v[31:32], v19 offset1:32
	ds_load_b128 v[2:5], v18 offset:32
	s_waitcnt lgkmcnt(3)
	v_fmac_f32_e32 v22, v33, v25
	v_fmac_f32_e32 v22, v34, v26
	ds_load_2addr_b32 v[33:34], v19 offset0:64 offset1:96
	s_waitcnt lgkmcnt(3)
	v_fmac_f32_e32 v22, v29, v27
	s_delay_alu instid0(VALU_DEP_1) | instskip(SKIP_4) | instid1(VALU_DEP_1)
	v_fmac_f32_e32 v22, v30, v28
	ds_load_b128 v[25:28], v18 offset:48
	ds_load_2addr_b32 v[29:30], v19 offset0:128 offset1:160
	s_waitcnt lgkmcnt(3)
	v_fmac_f32_e32 v22, v31, v2
	v_fmac_f32_e32 v22, v32, v3
	ds_load_2addr_b32 v[31:32], v19 offset0:192 offset1:224
	s_waitcnt lgkmcnt(3)
	v_fmac_f32_e32 v22, v33, v4
	s_delay_alu instid0(VALU_DEP_1) | instskip(SKIP_4) | instid1(VALU_DEP_1)
	v_fmac_f32_e32 v22, v34, v5
	ds_load_2addr_b32 v[33:34], v20 offset1:32
	ds_load_b128 v[2:5], v18 offset:64
	s_waitcnt lgkmcnt(3)
	v_fmac_f32_e32 v22, v29, v25
	v_fmac_f32_e32 v22, v30, v26
	ds_load_2addr_b32 v[29:30], v20 offset0:64 offset1:96
	s_waitcnt lgkmcnt(3)
	v_fmac_f32_e32 v22, v31, v27
	s_delay_alu instid0(VALU_DEP_1) | instskip(SKIP_4) | instid1(VALU_DEP_1)
	v_fmac_f32_e32 v22, v32, v28
	ds_load_2addr_b32 v[31:32], v20 offset0:128 offset1:160
	ds_load_b128 v[25:28], v18 offset:80
	s_waitcnt lgkmcnt(3)
	v_fmac_f32_e32 v22, v33, v2
	v_fmac_f32_e32 v22, v34, v3
	ds_load_2addr_b32 v[33:34], v20 offset0:192 offset1:224
	s_waitcnt lgkmcnt(3)
	v_fmac_f32_e32 v22, v29, v4
	s_delay_alu instid0(VALU_DEP_1) | instskip(SKIP_4) | instid1(VALU_DEP_1)
	v_fmac_f32_e32 v22, v30, v5
	ds_load_2addr_b32 v[29:30], v21 offset1:32
	ds_load_b128 v[2:5], v18 offset:96
	s_waitcnt lgkmcnt(3)
	v_fmac_f32_e32 v22, v31, v25
	v_fmac_f32_e32 v22, v32, v26
	ds_load_2addr_b32 v[31:32], v21 offset0:64 offset1:96
	s_waitcnt lgkmcnt(3)
	v_fmac_f32_e32 v22, v33, v27
	s_delay_alu instid0(VALU_DEP_1) | instskip(SKIP_4) | instid1(VALU_DEP_1)
	v_fmac_f32_e32 v22, v34, v28
	ds_load_2addr_b32 v[33:34], v21 offset0:128 offset1:160
	ds_load_b128 v[25:28], v18 offset:112
	s_waitcnt lgkmcnt(3)
	v_fmac_f32_e32 v22, v29, v2
	v_fmac_f32_e32 v22, v30, v3
	ds_load_2addr_b32 v[2:3], v21 offset0:192 offset1:224
	s_waitcnt lgkmcnt(0)
	s_barrier
	buffer_gl0_inv
	v_fmac_f32_e32 v22, v31, v4
	s_delay_alu instid0(VALU_DEP_1) | instskip(NEXT) | instid1(VALU_DEP_1)
	v_fmac_f32_e32 v22, v32, v5
	v_fmac_f32_e32 v22, v33, v25
	s_delay_alu instid0(VALU_DEP_1) | instskip(NEXT) | instid1(VALU_DEP_1)
	v_fmac_f32_e32 v22, v34, v26
	v_fmac_f32_e32 v22, v2, v27
	s_delay_alu instid0(VALU_DEP_1)
	v_fmac_f32_e32 v22, v3, v28
	s_cbranch_scc1 .LBB1_14
.LBB1_17:                               ;   Parent Loop BB1_12 Depth=1
                                        ;     Parent Loop BB1_15 Depth=2
                                        ; =>    This Inner Loop Header: Depth=3
	s_and_b32 vcc_lo, exec_lo, s24
	s_cbranch_vccz .LBB1_23
; %bb.18:                               ;   in Loop: Header=BB1_17 Depth=3
	s_mov_b32 s34, 0
	s_mov_b32 s33, 0
                                        ; implicit-def: $vgpr2_vgpr3
	s_and_saveexec_b32 s35, s0
	s_cbranch_execz .LBB1_22
; %bb.19:                               ;   in Loop: Header=BB1_17 Depth=3
	v_add_nc_u32_e32 v2, s29, v0
	s_delay_alu instid0(VALU_DEP_1) | instskip(SKIP_1) | instid1(SALU_CYCLE_1)
	v_cmp_gt_i32_e32 vcc_lo, s13, v2
                                        ; implicit-def: $vgpr2_vgpr3
	s_and_saveexec_b32 s36, vcc_lo
	s_xor_b32 s36, exec_lo, s36
; %bb.20:                               ;   in Loop: Header=BB1_17 Depth=3
	v_add_nc_u32_e32 v4, s29, v1
	s_mov_b32 s33, exec_lo
	s_delay_alu instid0(VALU_DEP_1) | instskip(SKIP_2) | instid1(VALU_DEP_3)
	v_ashrrev_i32_e32 v5, 31, v4
	v_mul_lo_u32 v25, v4, s11
	v_mad_u64_u32 v[2:3], null, v4, s10, 0
	v_mul_lo_u32 v4, v5, s10
	s_delay_alu instid0(VALU_DEP_1) | instskip(NEXT) | instid1(VALU_DEP_1)
	v_add3_u32 v3, v3, v25, v4
	v_lshlrev_b64 v[2:3], 2, v[2:3]
	s_delay_alu instid0(VALU_DEP_1) | instskip(NEXT) | instid1(VALU_DEP_2)
	v_add_co_u32 v2, vcc_lo, v9, v2
	v_add_co_ci_u32_e32 v3, vcc_lo, v10, v3, vcc_lo
; %bb.21:                               ;   in Loop: Header=BB1_17 Depth=3
	s_or_b32 exec_lo, exec_lo, s36
	s_delay_alu instid0(SALU_CYCLE_1)
	s_and_b32 s33, s33, exec_lo
.LBB1_22:                               ;   in Loop: Header=BB1_17 Depth=3
	s_or_b32 exec_lo, exec_lo, s35
	s_delay_alu instid0(SALU_CYCLE_1)
	s_and_b32 vcc_lo, exec_lo, s34
	s_cbranch_vccnz .LBB1_24
	s_branch .LBB1_29
.LBB1_23:                               ;   in Loop: Header=BB1_17 Depth=3
	s_mov_b32 s34, -1
	s_mov_b32 s33, 0
                                        ; implicit-def: $vgpr2_vgpr3
	s_cbranch_execz .LBB1_29
.LBB1_24:                               ;   in Loop: Header=BB1_17 Depth=3
                                        ; implicit-def: $vgpr2_vgpr3
	s_and_saveexec_b32 s34, s0
	s_cbranch_execz .LBB1_28
; %bb.25:                               ;   in Loop: Header=BB1_17 Depth=3
	v_add_nc_u32_e32 v2, s29, v0
	s_mov_b32 s36, s33
	s_delay_alu instid0(VALU_DEP_1)
	v_cmp_gt_i32_e32 vcc_lo, s13, v2
                                        ; implicit-def: $vgpr2_vgpr3
	s_and_saveexec_b32 s35, vcc_lo
; %bb.26:                               ;   in Loop: Header=BB1_17 Depth=3
	v_add_nc_u32_e32 v2, s29, v1
	s_or_b32 s36, s33, exec_lo
	s_delay_alu instid0(VALU_DEP_1) | instskip(NEXT) | instid1(VALU_DEP_1)
	v_ashrrev_i32_e32 v3, 31, v2
	v_lshlrev_b64 v[2:3], 2, v[2:3]
	s_delay_alu instid0(VALU_DEP_1) | instskip(NEXT) | instid1(VALU_DEP_2)
	v_add_co_u32 v2, vcc_lo, v11, v2
	v_add_co_ci_u32_e32 v3, vcc_lo, v12, v3, vcc_lo
; %bb.27:                               ;   in Loop: Header=BB1_17 Depth=3
	s_or_b32 exec_lo, exec_lo, s35
	s_delay_alu instid0(SALU_CYCLE_1) | instskip(SKIP_1) | instid1(SALU_CYCLE_1)
	s_and_not1_b32 s33, s33, exec_lo
	s_and_b32 s35, s36, exec_lo
	s_or_b32 s33, s33, s35
.LBB1_28:                               ;   in Loop: Header=BB1_17 Depth=3
	s_or_b32 exec_lo, exec_lo, s34
	s_mov_b32 s34, 0
.LBB1_29:                               ;   in Loop: Header=BB1_17 Depth=3
	s_delay_alu instid0(SALU_CYCLE_1)
	v_mov_b32_e32 v4, s34
	s_and_saveexec_b32 s34, s33
	s_cbranch_execnz .LBB1_39
; %bb.30:                               ;   in Loop: Header=BB1_17 Depth=3
	s_or_b32 exec_lo, exec_lo, s34
	s_delay_alu instid0(SALU_CYCLE_1)
	s_and_b32 vcc_lo, exec_lo, s26
	ds_store_b32 v8, v4
	s_cbranch_vccz .LBB1_40
.LBB1_31:                               ;   in Loop: Header=BB1_17 Depth=3
	s_mov_b32 s33, 0
	s_mov_b32 s34, 0
                                        ; implicit-def: $vgpr2
	s_and_saveexec_b32 s35, s1
	s_cbranch_execz .LBB1_35
; %bb.32:                               ;   in Loop: Header=BB1_17 Depth=3
	v_add_nc_u32_e32 v3, s29, v6
	s_mov_b32 s36, exec_lo
                                        ; implicit-def: $vgpr2
	s_delay_alu instid0(VALU_DEP_1)
	v_cmpx_gt_i32_e64 s13, v3
	s_xor_b32 s36, exec_lo, s36
; %bb.33:                               ;   in Loop: Header=BB1_17 Depth=3
	s_mov_b32 s34, exec_lo
	v_mul_lo_u32 v2, v3, s13
; %bb.34:                               ;   in Loop: Header=BB1_17 Depth=3
	s_or_b32 exec_lo, exec_lo, s36
	s_delay_alu instid0(SALU_CYCLE_1)
	s_and_b32 s34, s34, exec_lo
.LBB1_35:                               ;   in Loop: Header=BB1_17 Depth=3
	s_or_b32 exec_lo, exec_lo, s35
	v_mov_b32_e32 v4, v23
	s_and_b32 vcc_lo, exec_lo, s33
	s_cbranch_vccz .LBB1_37
.LBB1_36:                               ;   in Loop: Header=BB1_17 Depth=3
	v_add_nc_u32_e32 v2, s29, v6
	v_mov_b32_e32 v4, v24
	s_and_not1_b32 s34, s34, exec_lo
	s_delay_alu instid0(VALU_DEP_2) | instskip(SKIP_1) | instid1(SALU_CYCLE_1)
	v_cmp_gt_i32_e32 vcc_lo, s13, v2
	s_and_b32 s33, s1, vcc_lo
	s_and_b32 s35, s33, exec_lo
	s_mov_b32 s33, 0
	s_or_b32 s34, s34, s35
.LBB1_37:                               ;   in Loop: Header=BB1_17 Depth=3
	v_mov_b32_e32 v3, s33
	s_and_saveexec_b32 s33, s34
	s_cbranch_execz .LBB1_16
; %bb.38:                               ;   in Loop: Header=BB1_17 Depth=3
	v_ashrrev_i32_e32 v5, 31, v4
	v_ashrrev_i32_e32 v3, 31, v2
	s_delay_alu instid0(VALU_DEP_2) | instskip(NEXT) | instid1(VALU_DEP_2)
	v_lshlrev_b64 v[4:5], 2, v[4:5]
	v_lshlrev_b64 v[2:3], 2, v[2:3]
	s_delay_alu instid0(VALU_DEP_2) | instskip(NEXT) | instid1(VALU_DEP_3)
	v_add_co_u32 v4, vcc_lo, s20, v4
	v_add_co_ci_u32_e32 v5, vcc_lo, s21, v5, vcc_lo
	s_delay_alu instid0(VALU_DEP_2) | instskip(NEXT) | instid1(VALU_DEP_2)
	v_add_co_u32 v2, vcc_lo, v4, v2
	v_add_co_ci_u32_e32 v3, vcc_lo, v5, v3, vcc_lo
	global_load_b32 v3, v[2:3], off
	s_branch .LBB1_16
.LBB1_39:                               ;   in Loop: Header=BB1_17 Depth=3
	global_load_b32 v4, v[2:3], off
	s_or_b32 exec_lo, exec_lo, s34
	s_delay_alu instid0(SALU_CYCLE_1)
	s_and_b32 vcc_lo, exec_lo, s26
	s_waitcnt vmcnt(0)
	ds_store_b32 v8, v4
	s_cbranch_vccnz .LBB1_31
.LBB1_40:                               ;   in Loop: Header=BB1_17 Depth=3
	s_mov_b32 s33, -1
	s_mov_b32 s34, 0
                                        ; implicit-def: $vgpr4
                                        ; implicit-def: $vgpr2
	s_cbranch_execnz .LBB1_36
	s_branch .LBB1_37
.LBB1_41:                               ;   in Loop: Header=BB1_12 Depth=1
	v_cmp_gt_i32_e32 vcc_lo, s13, v23
	s_and_b32 s2, s27, vcc_lo
	s_delay_alu instid0(SALU_CYCLE_1)
	s_and_saveexec_b32 s1, s2
	s_cbranch_execz .LBB1_11
; %bb.42:                               ;   in Loop: Header=BB1_12 Depth=1
	v_add_nc_u32_e32 v1, s14, v23
	s_and_b32 vcc_lo, exec_lo, s25
	s_delay_alu instid0(VALU_DEP_1)
	v_ashrrev_i32_e32 v2, 31, v1
	s_cbranch_vccz .LBB1_48
; %bb.43:                               ;   in Loop: Header=BB1_12 Depth=1
	s_and_b32 vcc_lo, exec_lo, s9
	s_mov_b32 s2, -1
	s_cbranch_vccz .LBB1_45
; %bb.44:                               ;   in Loop: Header=BB1_12 Depth=1
	v_mul_lo_u32 v5, v2, s22
	v_mul_lo_u32 v23, v1, s23
	v_mad_u64_u32 v[3:4], null, v1, s22, 0
	s_mov_b32 s2, 0
	s_delay_alu instid0(VALU_DEP_1) | instskip(SKIP_1) | instid1(VALU_DEP_2)
	v_add3_u32 v4, v4, v23, v5
	v_mul_f32_e32 v23, s12, v22
	v_lshlrev_b64 v[3:4], 2, v[3:4]
	s_delay_alu instid0(VALU_DEP_1) | instskip(NEXT) | instid1(VALU_DEP_2)
	v_add_co_u32 v3, vcc_lo, v13, v3
	v_add_co_ci_u32_e32 v4, vcc_lo, v14, v4, vcc_lo
	global_load_b32 v5, v[3:4], off
	s_waitcnt vmcnt(0)
	v_fmac_f32_e32 v23, s28, v5
	global_store_b32 v[3:4], v23, off
.LBB1_45:                               ;   in Loop: Header=BB1_12 Depth=1
	s_and_not1_b32 vcc_lo, exec_lo, s2
	s_cbranch_vccnz .LBB1_47
; %bb.46:                               ;   in Loop: Header=BB1_12 Depth=1
	v_lshlrev_b64 v[3:4], 2, v[1:2]
	v_mul_f32_e32 v23, s12, v22
	s_delay_alu instid0(VALU_DEP_2) | instskip(NEXT) | instid1(VALU_DEP_3)
	v_add_co_u32 v3, vcc_lo, v16, v3
	v_add_co_ci_u32_e32 v4, vcc_lo, v17, v4, vcc_lo
	global_load_b32 v5, v[3:4], off
	s_waitcnt vmcnt(0)
	v_fmac_f32_e32 v23, s28, v5
	global_store_b32 v[3:4], v23, off
.LBB1_47:                               ;   in Loop: Header=BB1_12 Depth=1
	s_cbranch_execnz .LBB1_11
	s_branch .LBB1_49
.LBB1_48:                               ;   in Loop: Header=BB1_12 Depth=1
.LBB1_49:                               ;   in Loop: Header=BB1_12 Depth=1
	v_mul_f32_e32 v3, s12, v22
	s_and_b32 vcc_lo, exec_lo, s9
	s_mov_b32 s2, -1
	s_cbranch_vccz .LBB1_51
; %bb.50:                               ;   in Loop: Header=BB1_12 Depth=1
	v_mul_lo_u32 v22, v2, s22
	v_mul_lo_u32 v23, v1, s23
	v_mad_u64_u32 v[4:5], null, v1, s22, 0
	s_mov_b32 s2, 0
	s_delay_alu instid0(VALU_DEP_1) | instskip(NEXT) | instid1(VALU_DEP_1)
	v_add3_u32 v5, v5, v23, v22
	v_lshlrev_b64 v[4:5], 2, v[4:5]
	s_delay_alu instid0(VALU_DEP_1) | instskip(NEXT) | instid1(VALU_DEP_2)
	v_add_co_u32 v4, vcc_lo, v13, v4
	v_add_co_ci_u32_e32 v5, vcc_lo, v14, v5, vcc_lo
	global_store_b32 v[4:5], v3, off
.LBB1_51:                               ;   in Loop: Header=BB1_12 Depth=1
	s_and_not1_b32 vcc_lo, exec_lo, s2
	s_cbranch_vccnz .LBB1_11
; %bb.52:                               ;   in Loop: Header=BB1_12 Depth=1
	v_lshlrev_b64 v[1:2], 2, v[1:2]
	s_delay_alu instid0(VALU_DEP_1) | instskip(NEXT) | instid1(VALU_DEP_2)
	v_add_co_u32 v1, vcc_lo, v16, v1
	v_add_co_ci_u32_e32 v2, vcc_lo, v17, v2, vcc_lo
	global_store_b32 v[1:2], v3, off
	s_branch .LBB1_11
.LBB1_53:
	s_nop 0
	s_sendmsg sendmsg(MSG_DEALLOC_VGPRS)
	s_endpgm
	.section	.rodata,"a",@progbits
	.p2align	6, 0x0
	.amdhsa_kernel _ZN9rocsparseL29bsrmm_general_blockdim_kernelILj32ELj32EliffffEEvb20rocsparse_direction_T2_S2_llNS_24const_host_device_scalarIT6_EEPKT1_PKS2_PKT3_S2_PKT4_llS5_PT5_ll16rocsparse_order_21rocsparse_index_base_b
		.amdhsa_group_segment_fixed_size 8192
		.amdhsa_private_segment_fixed_size 0
		.amdhsa_kernarg_size 140
		.amdhsa_user_sgpr_count 14
		.amdhsa_user_sgpr_dispatch_ptr 0
		.amdhsa_user_sgpr_queue_ptr 0
		.amdhsa_user_sgpr_kernarg_segment_ptr 1
		.amdhsa_user_sgpr_dispatch_id 0
		.amdhsa_user_sgpr_private_segment_size 0
		.amdhsa_wavefront_size32 1
		.amdhsa_uses_dynamic_stack 0
		.amdhsa_enable_private_segment 0
		.amdhsa_system_sgpr_workgroup_id_x 1
		.amdhsa_system_sgpr_workgroup_id_y 1
		.amdhsa_system_sgpr_workgroup_id_z 0
		.amdhsa_system_sgpr_workgroup_info 0
		.amdhsa_system_vgpr_workitem_id 1
		.amdhsa_next_free_vgpr 35
		.amdhsa_next_free_sgpr 37
		.amdhsa_reserve_vcc 1
		.amdhsa_float_round_mode_32 0
		.amdhsa_float_round_mode_16_64 0
		.amdhsa_float_denorm_mode_32 3
		.amdhsa_float_denorm_mode_16_64 3
		.amdhsa_dx10_clamp 1
		.amdhsa_ieee_mode 1
		.amdhsa_fp16_overflow 0
		.amdhsa_workgroup_processor_mode 1
		.amdhsa_memory_ordered 1
		.amdhsa_forward_progress 0
		.amdhsa_shared_vgpr_count 0
		.amdhsa_exception_fp_ieee_invalid_op 0
		.amdhsa_exception_fp_denorm_src 0
		.amdhsa_exception_fp_ieee_div_zero 0
		.amdhsa_exception_fp_ieee_overflow 0
		.amdhsa_exception_fp_ieee_underflow 0
		.amdhsa_exception_fp_ieee_inexact 0
		.amdhsa_exception_int_div_zero 0
	.end_amdhsa_kernel
	.section	.text._ZN9rocsparseL29bsrmm_general_blockdim_kernelILj32ELj32EliffffEEvb20rocsparse_direction_T2_S2_llNS_24const_host_device_scalarIT6_EEPKT1_PKS2_PKT3_S2_PKT4_llS5_PT5_ll16rocsparse_order_21rocsparse_index_base_b,"axG",@progbits,_ZN9rocsparseL29bsrmm_general_blockdim_kernelILj32ELj32EliffffEEvb20rocsparse_direction_T2_S2_llNS_24const_host_device_scalarIT6_EEPKT1_PKS2_PKT3_S2_PKT4_llS5_PT5_ll16rocsparse_order_21rocsparse_index_base_b,comdat
.Lfunc_end1:
	.size	_ZN9rocsparseL29bsrmm_general_blockdim_kernelILj32ELj32EliffffEEvb20rocsparse_direction_T2_S2_llNS_24const_host_device_scalarIT6_EEPKT1_PKS2_PKT3_S2_PKT4_llS5_PT5_ll16rocsparse_order_21rocsparse_index_base_b, .Lfunc_end1-_ZN9rocsparseL29bsrmm_general_blockdim_kernelILj32ELj32EliffffEEvb20rocsparse_direction_T2_S2_llNS_24const_host_device_scalarIT6_EEPKT1_PKS2_PKT3_S2_PKT4_llS5_PT5_ll16rocsparse_order_21rocsparse_index_base_b
                                        ; -- End function
	.section	.AMDGPU.csdata,"",@progbits
; Kernel info:
; codeLenInByte = 2204
; NumSgprs: 39
; NumVgprs: 35
; ScratchSize: 0
; MemoryBound: 0
; FloatMode: 240
; IeeeMode: 1
; LDSByteSize: 8192 bytes/workgroup (compile time only)
; SGPRBlocks: 4
; VGPRBlocks: 4
; NumSGPRsForWavesPerEU: 39
; NumVGPRsForWavesPerEU: 35
; Occupancy: 16
; WaveLimiterHint : 0
; COMPUTE_PGM_RSRC2:SCRATCH_EN: 0
; COMPUTE_PGM_RSRC2:USER_SGPR: 14
; COMPUTE_PGM_RSRC2:TRAP_HANDLER: 0
; COMPUTE_PGM_RSRC2:TGID_X_EN: 1
; COMPUTE_PGM_RSRC2:TGID_Y_EN: 1
; COMPUTE_PGM_RSRC2:TGID_Z_EN: 0
; COMPUTE_PGM_RSRC2:TIDIG_COMP_CNT: 1
	.section	.text._ZN9rocsparseL29bsrmm_general_blockdim_kernelILj32ELj32EllffffEEvb20rocsparse_direction_T2_S2_llNS_24const_host_device_scalarIT6_EEPKT1_PKS2_PKT3_S2_PKT4_llS5_PT5_ll16rocsparse_order_21rocsparse_index_base_b,"axG",@progbits,_ZN9rocsparseL29bsrmm_general_blockdim_kernelILj32ELj32EllffffEEvb20rocsparse_direction_T2_S2_llNS_24const_host_device_scalarIT6_EEPKT1_PKS2_PKT3_S2_PKT4_llS5_PT5_ll16rocsparse_order_21rocsparse_index_base_b,comdat
	.globl	_ZN9rocsparseL29bsrmm_general_blockdim_kernelILj32ELj32EllffffEEvb20rocsparse_direction_T2_S2_llNS_24const_host_device_scalarIT6_EEPKT1_PKS2_PKT3_S2_PKT4_llS5_PT5_ll16rocsparse_order_21rocsparse_index_base_b ; -- Begin function _ZN9rocsparseL29bsrmm_general_blockdim_kernelILj32ELj32EllffffEEvb20rocsparse_direction_T2_S2_llNS_24const_host_device_scalarIT6_EEPKT1_PKS2_PKT3_S2_PKT4_llS5_PT5_ll16rocsparse_order_21rocsparse_index_base_b
	.p2align	8
	.type	_ZN9rocsparseL29bsrmm_general_blockdim_kernelILj32ELj32EllffffEEvb20rocsparse_direction_T2_S2_llNS_24const_host_device_scalarIT6_EEPKT1_PKS2_PKT3_S2_PKT4_llS5_PT5_ll16rocsparse_order_21rocsparse_index_base_b,@function
_ZN9rocsparseL29bsrmm_general_blockdim_kernelILj32ELj32EllffffEEvb20rocsparse_direction_T2_S2_llNS_24const_host_device_scalarIT6_EEPKT1_PKS2_PKT3_S2_PKT4_llS5_PT5_ll16rocsparse_order_21rocsparse_index_base_b: ; @_ZN9rocsparseL29bsrmm_general_blockdim_kernelILj32ELj32EllffffEEvb20rocsparse_direction_T2_S2_llNS_24const_host_device_scalarIT6_EEPKT1_PKS2_PKT3_S2_PKT4_llS5_PT5_ll16rocsparse_order_21rocsparse_index_base_b
; %bb.0:
	s_clause 0x2
	s_load_b128 s[20:23], s[0:1], 0x88
	s_load_b64 s[12:13], s[0:1], 0x28
	s_load_b64 s[28:29], s[0:1], 0x68
	s_mov_b32 s2, s15
	s_waitcnt lgkmcnt(0)
	s_bitcmp1_b32 s22, 0
	s_cselect_b32 s3, -1, 0
	s_delay_alu instid0(SALU_CYCLE_1)
	s_and_b32 vcc_lo, exec_lo, s3
	s_xor_b32 s3, s3, -1
	s_cbranch_vccnz .LBB2_2
; %bb.1:
	s_load_b32 s12, s[12:13], 0x0
.LBB2_2:
	s_and_not1_b32 vcc_lo, exec_lo, s3
	s_cbranch_vccnz .LBB2_4
; %bb.3:
	s_load_b32 s28, s[28:29], 0x0
.LBB2_4:
	s_waitcnt lgkmcnt(0)
	v_cmp_eq_f32_e64 s3, s12, 0
	v_cmp_eq_f32_e64 s4, s28, 1.0
	s_delay_alu instid0(VALU_DEP_1) | instskip(NEXT) | instid1(SALU_CYCLE_1)
	s_and_b32 s3, s3, s4
	s_and_b32 vcc_lo, exec_lo, s3
	s_cbranch_vccnz .LBB2_53
; %bb.5:
	s_clause 0x1
	s_load_b128 s[24:27], s[0:1], 0x8
	s_load_b64 s[4:5], s[0:1], 0x30
	s_ashr_i32 s15, s14, 31
	s_mov_b64 s[22:23], 0
	s_waitcnt lgkmcnt(0)
	v_cmp_ge_i64_e64 s3, s[14:15], s[24:25]
	v_cmp_lt_i64_e64 s34, s[14:15], s[24:25]
	s_mov_b64 s[24:25], 0
	s_delay_alu instid0(VALU_DEP_2)
	s_and_b32 vcc_lo, exec_lo, s3
	s_cbranch_vccz .LBB2_8
; %bb.6:
	s_delay_alu instid0(VALU_DEP_1)
	s_and_not1_b32 vcc_lo, exec_lo, s34
	s_cbranch_vccz .LBB2_9
.LBB2_7:
	s_load_b64 s[30:31], s[0:1], 0x48
	s_waitcnt lgkmcnt(0)
	v_cmp_lt_i64_e64 s3, s[30:31], 1
	s_delay_alu instid0(VALU_DEP_1)
	s_and_b32 vcc_lo, exec_lo, s3
	s_cbranch_vccz .LBB2_10
	s_branch .LBB2_53
.LBB2_8:
	s_lshl_b64 s[6:7], s[14:15], 3
	s_delay_alu instid0(SALU_CYCLE_1)
	s_add_u32 s6, s4, s6
	s_addc_u32 s7, s5, s7
	s_load_b64 s[6:7], s[6:7], 0x0
	s_waitcnt lgkmcnt(0)
	s_sub_u32 s24, s6, s21
	s_subb_u32 s25, s7, 0
	s_and_not1_b32 vcc_lo, exec_lo, s34
	s_cbranch_vccnz .LBB2_7
.LBB2_9:
	s_lshl_b64 s[6:7], s[14:15], 3
	s_delay_alu instid0(SALU_CYCLE_1)
	s_add_u32 s4, s4, s6
	s_addc_u32 s5, s5, s7
	s_load_b64 s[4:5], s[4:5], 0x8
	s_waitcnt lgkmcnt(0)
	s_sub_u32 s22, s4, s21
	s_subb_u32 s23, s5, 0
	s_load_b64 s[30:31], s[0:1], 0x48
	s_waitcnt lgkmcnt(0)
	v_cmp_lt_i64_e64 s3, s[30:31], 1
	s_delay_alu instid0(VALU_DEP_1)
	s_and_b32 vcc_lo, exec_lo, s3
	s_cbranch_vccnz .LBB2_53
.LBB2_10:
	s_clause 0x3
	s_load_b64 s[36:37], s[0:1], 0x0
	s_load_b128 s[4:7], s[0:1], 0x70
	s_load_b128 s[8:11], s[0:1], 0x38
	;; [unrolled: 1-line block ×3, first 2 shown]
	v_bfe_u32 v16, v0, 10, 10
	v_dual_mov_b32 v2, 0 :: v_dual_and_b32 v17, 0x3ff, v0
	s_mul_i32 s0, s14, s31
	s_mul_hi_u32 s1, s14, s30
	s_delay_alu instid0(VALU_DEP_2)
	v_lshl_add_u32 v1, s2, 5, v16
	v_lshlrev_b32_e32 v0, 5, v16
	s_mul_i32 s13, s14, s30
	s_mul_i32 s3, s30, s31
	s_mul_hi_u32 s14, s30, s30
	v_lshlrev_b64 v[3:4], 2, v[1:2]
	v_add_lshl_u32 v22, v0, v17, 2
	v_lshlrev_b32_e32 v24, 2, v17
	v_cmp_lt_i64_e64 s41, s[24:25], s[22:23]
	v_cmp_neq_f32_e64 s39, s28, 0
	v_lshl_add_u32 v27, v16, 7, 0x1000
	s_mul_i32 s2, s30, s30
	s_waitcnt lgkmcnt(0)
	s_bitcmp1_b32 s36, 0
	v_add_co_u32 v18, vcc_lo, s4, v3
	v_mad_u64_u32 v[5:6], null, v1, s6, 0
	v_add_co_ci_u32_e32 v19, vcc_lo, s5, v4, vcc_lo
	v_add_co_u32 v20, vcc_lo, s16, v3
	v_add_co_ci_u32_e32 v21, vcc_lo, s17, v4, vcc_lo
	v_mad_u64_u32 v[3:4], null, s18, v1, 0
	v_dual_mov_b32 v0, v6 :: v_dual_add_nc_u32 v23, 0x1000, v22
	s_cselect_b32 s15, -1, 0
	s_add_i32 s29, s1, s0
	s_add_i32 s0, s14, s3
	s_delay_alu instid0(VALU_DEP_1)
	v_mad_u64_u32 v[6:7], null, v1, s7, v[0:1]
	s_add_i32 s3, s0, s3
	v_cmp_gt_i64_e64 s0, s[26:27], v[1:2]
	v_mov_b32_e32 v0, v4
	s_xor_b32 s33, s15, -1
	s_cmp_lg_u32 s37, 0
	s_mul_i32 s1, s24, s31
	s_cselect_b32 s37, -1, 0
	s_and_b32 s38, s34, s0
	v_mad_u64_u32 v[7:8], null, s19, v1, v[0:1]
	s_cmp_lg_u32 s20, 1
	s_mul_hi_u32 s14, s24, s30
	s_cselect_b32 s40, -1, 0
	v_lshlrev_b64 v[0:1], 2, v[5:6]
	s_add_i32 s1, s14, s1
	s_mul_i32 s14, s25, s30
	s_delay_alu instid0(VALU_DEP_2)
	v_mov_b32_e32 v4, v7
	s_add_i32 s15, s1, s14
	s_mul_i32 s14, s24, s30
	v_add_co_u32 v25, vcc_lo, s4, v0
	s_lshl_b64 s[14:15], s[14:15], 2
	v_add_co_ci_u32_e32 v26, vcc_lo, s5, v1, vcc_lo
	v_lshlrev_b32_e32 v1, 2, v16
	v_add_co_u32 v7, s1, s14, v24
	s_delay_alu instid0(VALU_DEP_1) | instskip(SKIP_1) | instid1(VALU_DEP_3)
	v_add_co_ci_u32_e64 v5, null, s15, 0, s1
	v_lshlrev_b64 v[3:4], 2, v[3:4]
	v_mul_lo_u32 v9, s31, v7
	s_mov_b32 s36, s21
	s_delay_alu instid0(VALU_DEP_3) | instskip(SKIP_1) | instid1(VALU_DEP_4)
	v_mul_lo_u32 v8, s30, v5
	v_mad_u64_u32 v[5:6], null, s30, v7, v[1:2]
	v_add_co_u32 v0, vcc_lo, v3, v24
	v_add_co_ci_u32_e32 v1, vcc_lo, 0, v4, vcc_lo
	s_lshl_b64 s[4:5], s[30:31], 2
	s_delay_alu instid0(VALU_DEP_2) | instskip(NEXT) | instid1(VALU_DEP_4)
	v_add_co_u32 v0, vcc_lo, s16, v0
	v_add3_u32 v3, v9, v6, v8
	s_delay_alu instid0(VALU_DEP_3) | instskip(SKIP_1) | instid1(VALU_DEP_3)
	v_add_co_ci_u32_e32 v1, vcc_lo, s17, v1, vcc_lo
	v_add_co_u32 v2, vcc_lo, s10, v5
	v_add_co_ci_u32_e32 v3, vcc_lo, s11, v3, vcc_lo
	s_lshl_b64 s[14:15], s[30:31], 7
	s_lshl_b64 s[16:17], s[2:3], 2
	s_mov_b64 s[20:21], 0
	s_branch .LBB2_12
.LBB2_11:                               ;   in Loop: Header=BB2_12 Depth=1
	s_or_b32 exec_lo, exec_lo, s1
	s_add_u32 s20, s20, 32
	s_addc_u32 s21, s21, 0
	v_add_co_u32 v2, vcc_lo, v2, s14
	v_cmp_lt_i64_e64 s1, s[20:21], s[30:31]
	v_add_co_ci_u32_e32 v3, vcc_lo, s15, v3, vcc_lo
	s_delay_alu instid0(VALU_DEP_2)
	s_and_b32 vcc_lo, exec_lo, s1
	s_cbranch_vccz .LBB2_53
.LBB2_12:                               ; =>This Loop Header: Depth=1
                                        ;     Child Loop BB2_15 Depth 2
                                        ;       Child Loop BB2_17 Depth 3
	v_add_co_u32 v4, s1, s20, v17
	s_delay_alu instid0(VALU_DEP_1) | instskip(SKIP_2) | instid1(VALU_DEP_2)
	v_add_co_ci_u32_e64 v5, null, s21, 0, s1
	v_mov_b32_e32 v28, 0
	s_and_not1_b32 vcc_lo, exec_lo, s41
	v_cmp_gt_i64_e64 s1, s[30:31], v[4:5]
	s_cbranch_vccnz .LBB2_41
; %bb.13:                               ;   in Loop: Header=BB2_12 Depth=1
	v_lshlrev_b64 v[6:7], 2, v[4:5]
	v_mov_b32_e32 v28, 0
	s_mov_b64 s[26:27], s[24:25]
	s_delay_alu instid0(VALU_DEP_2) | instskip(NEXT) | instid1(VALU_DEP_3)
	v_add_co_u32 v29, vcc_lo, s10, v6
	v_add_co_ci_u32_e32 v30, vcc_lo, s11, v7, vcc_lo
	v_dual_mov_b32 v7, v3 :: v_dual_mov_b32 v6, v2
	s_branch .LBB2_15
.LBB2_14:                               ;   in Loop: Header=BB2_15 Depth=2
	s_add_u32 s26, s26, 1
	s_addc_u32 s27, s27, 0
	v_add_co_u32 v6, vcc_lo, v6, s16
	v_cmp_ge_i64_e64 s34, s[26:27], s[22:23]
	v_add_co_ci_u32_e32 v7, vcc_lo, s17, v7, vcc_lo
	s_delay_alu instid0(VALU_DEP_2)
	s_and_b32 vcc_lo, exec_lo, s34
	s_cbranch_vccnz .LBB2_41
.LBB2_15:                               ;   Parent Loop BB2_12 Depth=1
                                        ; =>  This Loop Header: Depth=2
                                        ;       Child Loop BB2_17 Depth 3
	s_mul_i32 s34, s2, s27
	s_mul_hi_u32 s35, s2, s26
	s_mul_i32 s43, s3, s26
	s_add_i32 s42, s35, s34
	s_lshl_b64 s[34:35], s[26:27], 3
	s_add_i32 s43, s42, s43
	s_add_u32 s34, s8, s34
	s_addc_u32 s35, s9, s35
	s_mul_i32 s42, s2, s26
	s_load_b64 s[34:35], s[34:35], 0x0
	v_dual_mov_b32 v11, v7 :: v_dual_mov_b32 v10, v6
	s_waitcnt lgkmcnt(0)
	s_sub_u32 s44, s34, s36
	s_subb_u32 s45, s35, 0
	v_mad_u64_u32 v[8:9], null, s4, s44, v[0:1]
	s_lshl_b64 s[34:35], s[42:43], 2
	s_mul_i32 s46, s5, s44
	v_add_co_u32 v31, vcc_lo, v29, s34
	s_mul_i32 s34, s4, s45
	s_mul_i32 s42, s44, s31
	s_mul_hi_u32 s43, s44, s30
	v_add_co_ci_u32_e32 v32, vcc_lo, s35, v30, vcc_lo
	v_add3_u32 v9, s34, s46, v9
	s_mul_i32 s47, s45, s30
	s_add_i32 s35, s43, s42
	s_mul_i32 s43, s44, s30
	s_add_i32 s42, s35, s47
	s_mov_b64 s[34:35], 0
	s_branch .LBB2_17
.LBB2_16:                               ;   in Loop: Header=BB2_17 Depth=3
	s_or_b32 exec_lo, exec_lo, s44
	s_waitcnt vmcnt(0)
	ds_store_b32 v22, v14
	s_waitcnt lgkmcnt(0)
	s_waitcnt_vscnt null, 0x0
	s_barrier
	buffer_gl0_inv
	ds_load_2addr_b32 v[37:38], v24 offset1:32
	ds_load_b128 v[12:15], v27
	ds_load_2addr_b32 v[39:40], v24 offset0:64 offset1:96
	ds_load_b128 v[33:36], v27 offset:16
	ds_load_2addr_b32 v[41:42], v24 offset0:128 offset1:160
	s_add_u32 s34, s34, 32
	s_addc_u32 s35, s35, 0
	v_add_co_u32 v8, vcc_lo, 0x80, v8
	v_add_co_ci_u32_e32 v9, vcc_lo, 0, v9, vcc_lo
	v_cmp_ge_i64_e64 s44, s[34:35], s[30:31]
	v_add_co_u32 v10, vcc_lo, 0x80, v10
	v_add_co_ci_u32_e32 v11, vcc_lo, 0, v11, vcc_lo
	v_add_nc_u32_e32 v43, 0x400, v24
	s_delay_alu instid0(VALU_DEP_4) | instskip(SKIP_2) | instid1(VALU_DEP_1)
	s_and_b32 vcc_lo, exec_lo, s44
	s_waitcnt lgkmcnt(3)
	v_fmac_f32_e32 v28, v37, v12
	v_fmac_f32_e32 v28, v38, v13
	ds_load_2addr_b32 v[37:38], v24 offset0:192 offset1:224
	s_waitcnt lgkmcnt(3)
	v_fmac_f32_e32 v28, v39, v14
	s_delay_alu instid0(VALU_DEP_1) | instskip(SKIP_4) | instid1(VALU_DEP_1)
	v_fmac_f32_e32 v28, v40, v15
	ds_load_2addr_b32 v[39:40], v43 offset1:32
	ds_load_b128 v[12:15], v27 offset:32
	s_waitcnt lgkmcnt(3)
	v_fmac_f32_e32 v28, v41, v33
	v_fmac_f32_e32 v28, v42, v34
	ds_load_2addr_b32 v[41:42], v43 offset0:64 offset1:96
	s_waitcnt lgkmcnt(3)
	v_fmac_f32_e32 v28, v37, v35
	s_delay_alu instid0(VALU_DEP_1) | instskip(SKIP_4) | instid1(VALU_DEP_1)
	v_fmac_f32_e32 v28, v38, v36
	ds_load_b128 v[33:36], v27 offset:48
	ds_load_2addr_b32 v[37:38], v43 offset0:128 offset1:160
	s_waitcnt lgkmcnt(3)
	v_fmac_f32_e32 v28, v39, v12
	v_fmac_f32_e32 v28, v40, v13
	ds_load_2addr_b32 v[39:40], v43 offset0:192 offset1:224
	s_waitcnt lgkmcnt(3)
	v_dual_fmac_f32 v28, v41, v14 :: v_dual_add_nc_u32 v43, 0x800, v24
	s_delay_alu instid0(VALU_DEP_1) | instskip(SKIP_4) | instid1(VALU_DEP_1)
	v_fmac_f32_e32 v28, v42, v15
	ds_load_2addr_b32 v[41:42], v43 offset1:32
	ds_load_b128 v[12:15], v27 offset:64
	s_waitcnt lgkmcnt(3)
	v_fmac_f32_e32 v28, v37, v33
	v_fmac_f32_e32 v28, v38, v34
	ds_load_2addr_b32 v[37:38], v43 offset0:64 offset1:96
	s_waitcnt lgkmcnt(3)
	v_fmac_f32_e32 v28, v39, v35
	s_delay_alu instid0(VALU_DEP_1) | instskip(SKIP_4) | instid1(VALU_DEP_1)
	v_fmac_f32_e32 v28, v40, v36
	ds_load_b128 v[33:36], v27 offset:80
	ds_load_2addr_b32 v[39:40], v43 offset0:128 offset1:160
	s_waitcnt lgkmcnt(3)
	v_fmac_f32_e32 v28, v41, v12
	v_fmac_f32_e32 v28, v42, v13
	ds_load_2addr_b32 v[41:42], v43 offset0:192 offset1:224
	s_waitcnt lgkmcnt(3)
	v_dual_fmac_f32 v28, v37, v14 :: v_dual_add_nc_u32 v43, 0xc00, v24
	s_delay_alu instid0(VALU_DEP_1) | instskip(SKIP_4) | instid1(VALU_DEP_1)
	v_fmac_f32_e32 v28, v38, v15
	ds_load_2addr_b32 v[37:38], v43 offset1:32
	ds_load_b128 v[12:15], v27 offset:96
	s_waitcnt lgkmcnt(3)
	v_fmac_f32_e32 v28, v39, v33
	v_fmac_f32_e32 v28, v40, v34
	ds_load_2addr_b32 v[39:40], v43 offset0:64 offset1:96
	s_waitcnt lgkmcnt(3)
	v_fmac_f32_e32 v28, v41, v35
	s_delay_alu instid0(VALU_DEP_1) | instskip(SKIP_4) | instid1(VALU_DEP_1)
	v_fmac_f32_e32 v28, v42, v36
	ds_load_b128 v[33:36], v27 offset:112
	ds_load_2addr_b32 v[41:42], v43 offset0:128 offset1:160
	s_waitcnt lgkmcnt(3)
	v_fmac_f32_e32 v28, v37, v12
	v_fmac_f32_e32 v28, v38, v13
	ds_load_2addr_b32 v[12:13], v43 offset0:192 offset1:224
	s_waitcnt lgkmcnt(0)
	s_barrier
	buffer_gl0_inv
	v_fmac_f32_e32 v28, v39, v14
	s_delay_alu instid0(VALU_DEP_1) | instskip(NEXT) | instid1(VALU_DEP_1)
	v_fmac_f32_e32 v28, v40, v15
	v_fmac_f32_e32 v28, v41, v33
	s_delay_alu instid0(VALU_DEP_1) | instskip(NEXT) | instid1(VALU_DEP_1)
	v_fmac_f32_e32 v28, v42, v34
	v_fmac_f32_e32 v28, v12, v35
	s_delay_alu instid0(VALU_DEP_1)
	v_fmac_f32_e32 v28, v13, v36
	s_cbranch_vccnz .LBB2_14
.LBB2_17:                               ;   Parent Loop BB2_12 Depth=1
                                        ;     Parent Loop BB2_15 Depth=2
                                        ; =>    This Inner Loop Header: Depth=3
	s_and_b32 vcc_lo, exec_lo, s33
	s_cbranch_vccz .LBB2_23
; %bb.18:                               ;   in Loop: Header=BB2_17 Depth=3
	s_mov_b32 s44, 0
	s_mov_b32 s45, 0
                                        ; implicit-def: $vgpr12_vgpr13
	s_and_saveexec_b32 s46, s0
	s_cbranch_execz .LBB2_22
; %bb.19:                               ;   in Loop: Header=BB2_17 Depth=3
	v_add_co_u32 v14, s45, s34, v17
	s_delay_alu instid0(VALU_DEP_1) | instskip(SKIP_2) | instid1(VALU_DEP_1)
	v_add_co_ci_u32_e64 v15, null, s35, 0, s45
	s_mov_b32 s45, 0
	s_mov_b32 s47, exec_lo
                                        ; implicit-def: $vgpr12_vgpr13
	v_cmpx_gt_i64_e64 s[30:31], v[14:15]
	s_xor_b32 s47, exec_lo, s47
; %bb.20:                               ;   in Loop: Header=BB2_17 Depth=3
	v_add_co_u32 v14, vcc_lo, v14, s43
	v_add_co_ci_u32_e32 v12, vcc_lo, s42, v15, vcc_lo
	s_mov_b32 s45, exec_lo
	s_delay_alu instid0(VALU_DEP_2) | instskip(NEXT) | instid1(VALU_DEP_2)
	v_mul_lo_u32 v33, v14, s19
	v_mul_lo_u32 v15, v12, s18
	v_mad_u64_u32 v[12:13], null, v14, s18, 0
	s_delay_alu instid0(VALU_DEP_1) | instskip(NEXT) | instid1(VALU_DEP_1)
	v_add3_u32 v13, v13, v33, v15
	v_lshlrev_b64 v[12:13], 2, v[12:13]
	s_delay_alu instid0(VALU_DEP_1) | instskip(NEXT) | instid1(VALU_DEP_2)
	v_add_co_u32 v12, vcc_lo, v20, v12
	v_add_co_ci_u32_e32 v13, vcc_lo, v21, v13, vcc_lo
; %bb.21:                               ;   in Loop: Header=BB2_17 Depth=3
	s_or_b32 exec_lo, exec_lo, s47
	s_delay_alu instid0(SALU_CYCLE_1)
	s_and_b32 s45, s45, exec_lo
.LBB2_22:                               ;   in Loop: Header=BB2_17 Depth=3
	s_or_b32 exec_lo, exec_lo, s46
	s_delay_alu instid0(SALU_CYCLE_1)
	s_and_b32 vcc_lo, exec_lo, s44
	s_cbranch_vccnz .LBB2_24
	s_branch .LBB2_27
.LBB2_23:                               ;   in Loop: Header=BB2_17 Depth=3
	s_mov_b32 s44, -1
	s_mov_b32 s45, 0
                                        ; implicit-def: $vgpr12_vgpr13
	s_cbranch_execz .LBB2_27
.LBB2_24:                               ;   in Loop: Header=BB2_17 Depth=3
	s_and_saveexec_b32 s44, s0
; %bb.25:                               ;   in Loop: Header=BB2_17 Depth=3
	v_add_co_u32 v12, s46, v17, s34
	s_delay_alu instid0(VALU_DEP_1) | instskip(SKIP_1) | instid1(VALU_DEP_1)
	v_add_co_ci_u32_e64 v13, null, 0, s35, s46
	s_and_not1_b32 s45, s45, exec_lo
	v_cmp_gt_i64_e32 vcc_lo, s[30:31], v[12:13]
	s_and_b32 s46, vcc_lo, exec_lo
	s_delay_alu instid0(SALU_CYCLE_1)
	s_or_b32 s45, s45, s46
; %bb.26:                               ;   in Loop: Header=BB2_17 Depth=3
	s_or_b32 exec_lo, exec_lo, s44
	v_dual_mov_b32 v13, v9 :: v_dual_mov_b32 v12, v8
	s_mov_b32 s44, 0
.LBB2_27:                               ;   in Loop: Header=BB2_17 Depth=3
	s_delay_alu instid0(SALU_CYCLE_1)
	v_mov_b32_e32 v14, s44
	s_and_saveexec_b32 s44, s45
	s_cbranch_execnz .LBB2_35
; %bb.28:                               ;   in Loop: Header=BB2_17 Depth=3
	s_or_b32 exec_lo, exec_lo, s44
	s_delay_alu instid0(SALU_CYCLE_1)
	s_and_b32 vcc_lo, exec_lo, s37
	ds_store_b32 v23, v14
	s_cbranch_vccz .LBB2_36
.LBB2_29:                               ;   in Loop: Header=BB2_17 Depth=3
	s_mov_b32 s44, 0
	s_mov_b32 s45, 0
                                        ; implicit-def: $vgpr12_vgpr13
	s_and_saveexec_b32 s46, s1
	s_cbranch_execz .LBB2_33
; %bb.30:                               ;   in Loop: Header=BB2_17 Depth=3
	v_add_co_u32 v14, s45, s34, v16
	s_delay_alu instid0(VALU_DEP_1) | instskip(SKIP_2) | instid1(VALU_DEP_1)
	v_add_co_ci_u32_e64 v15, null, s35, 0, s45
	s_mov_b32 s45, 0
	s_mov_b32 s47, exec_lo
                                        ; implicit-def: $vgpr12_vgpr13
	v_cmpx_gt_i64_e64 s[30:31], v[14:15]
	s_xor_b32 s47, exec_lo, s47
; %bb.31:                               ;   in Loop: Header=BB2_17 Depth=3
	v_mul_lo_u32 v15, v15, s30
	v_mul_lo_u32 v33, v14, s31
	v_mad_u64_u32 v[12:13], null, v14, s30, 0
	s_mov_b32 s45, exec_lo
	s_delay_alu instid0(VALU_DEP_1) | instskip(NEXT) | instid1(VALU_DEP_1)
	v_add3_u32 v13, v13, v33, v15
	v_lshlrev_b64 v[12:13], 2, v[12:13]
	s_delay_alu instid0(VALU_DEP_1) | instskip(NEXT) | instid1(VALU_DEP_2)
	v_add_co_u32 v12, vcc_lo, v31, v12
	v_add_co_ci_u32_e32 v13, vcc_lo, v32, v13, vcc_lo
; %bb.32:                               ;   in Loop: Header=BB2_17 Depth=3
	s_or_b32 exec_lo, exec_lo, s47
	s_delay_alu instid0(SALU_CYCLE_1)
	s_and_b32 s45, s45, exec_lo
.LBB2_33:                               ;   in Loop: Header=BB2_17 Depth=3
	s_or_b32 exec_lo, exec_lo, s46
	s_delay_alu instid0(SALU_CYCLE_1)
	s_and_b32 vcc_lo, exec_lo, s44
	s_cbranch_vccnz .LBB2_37
.LBB2_34:                               ;   in Loop: Header=BB2_17 Depth=3
	v_mov_b32_e32 v14, s44
	s_and_saveexec_b32 s44, s45
	s_cbranch_execz .LBB2_16
	s_branch .LBB2_40
.LBB2_35:                               ;   in Loop: Header=BB2_17 Depth=3
	global_load_b32 v14, v[12:13], off
	s_or_b32 exec_lo, exec_lo, s44
	s_delay_alu instid0(SALU_CYCLE_1)
	s_and_b32 vcc_lo, exec_lo, s37
	s_waitcnt vmcnt(0)
	ds_store_b32 v23, v14
	s_cbranch_vccnz .LBB2_29
.LBB2_36:                               ;   in Loop: Header=BB2_17 Depth=3
	s_mov_b32 s44, -1
	s_mov_b32 s45, 0
                                        ; implicit-def: $vgpr12_vgpr13
	s_cbranch_execz .LBB2_34
.LBB2_37:                               ;   in Loop: Header=BB2_17 Depth=3
	s_and_saveexec_b32 s44, s1
; %bb.38:                               ;   in Loop: Header=BB2_17 Depth=3
	v_add_co_u32 v12, s46, v16, s34
	s_delay_alu instid0(VALU_DEP_1) | instskip(SKIP_1) | instid1(VALU_DEP_1)
	v_add_co_ci_u32_e64 v13, null, 0, s35, s46
	s_and_not1_b32 s45, s45, exec_lo
	v_cmp_gt_i64_e32 vcc_lo, s[30:31], v[12:13]
	s_and_b32 s46, vcc_lo, exec_lo
	s_delay_alu instid0(SALU_CYCLE_1)
	s_or_b32 s45, s45, s46
; %bb.39:                               ;   in Loop: Header=BB2_17 Depth=3
	s_or_b32 exec_lo, exec_lo, s44
	v_dual_mov_b32 v13, v11 :: v_dual_mov_b32 v12, v10
	s_mov_b32 s44, 0
	s_delay_alu instid0(SALU_CYCLE_1)
	v_mov_b32_e32 v14, s44
	s_and_saveexec_b32 s44, s45
	s_cbranch_execz .LBB2_16
.LBB2_40:                               ;   in Loop: Header=BB2_17 Depth=3
	global_load_b32 v14, v[12:13], off
	s_branch .LBB2_16
.LBB2_41:                               ;   in Loop: Header=BB2_12 Depth=1
	v_cmp_gt_i64_e32 vcc_lo, s[30:31], v[4:5]
	s_and_b32 s26, s38, vcc_lo
	s_delay_alu instid0(SALU_CYCLE_1)
	s_and_saveexec_b32 s1, s26
	s_cbranch_execz .LBB2_11
; %bb.42:                               ;   in Loop: Header=BB2_12 Depth=1
	v_add_co_u32 v4, vcc_lo, v4, s13
	v_add_co_ci_u32_e32 v5, vcc_lo, s29, v5, vcc_lo
	s_and_b32 vcc_lo, exec_lo, s39
	s_cbranch_vccz .LBB2_48
; %bb.43:                               ;   in Loop: Header=BB2_12 Depth=1
	s_and_b32 vcc_lo, exec_lo, s40
	s_mov_b32 s26, -1
	s_cbranch_vccz .LBB2_45
; %bb.44:                               ;   in Loop: Header=BB2_12 Depth=1
	v_mul_lo_u32 v8, v5, s6
	v_mul_lo_u32 v9, v4, s7
	v_mad_u64_u32 v[6:7], null, v4, s6, 0
	s_mov_b32 s26, 0
	s_delay_alu instid0(VALU_DEP_1) | instskip(SKIP_1) | instid1(VALU_DEP_2)
	v_add3_u32 v7, v7, v9, v8
	v_mul_f32_e32 v9, s12, v28
	v_lshlrev_b64 v[6:7], 2, v[6:7]
	s_delay_alu instid0(VALU_DEP_1) | instskip(NEXT) | instid1(VALU_DEP_2)
	v_add_co_u32 v6, vcc_lo, v18, v6
	v_add_co_ci_u32_e32 v7, vcc_lo, v19, v7, vcc_lo
	global_load_b32 v8, v[6:7], off
	s_waitcnt vmcnt(0)
	v_fmac_f32_e32 v9, s28, v8
	global_store_b32 v[6:7], v9, off
.LBB2_45:                               ;   in Loop: Header=BB2_12 Depth=1
	s_and_not1_b32 vcc_lo, exec_lo, s26
	s_cbranch_vccnz .LBB2_47
; %bb.46:                               ;   in Loop: Header=BB2_12 Depth=1
	v_lshlrev_b64 v[6:7], 2, v[4:5]
	v_mul_f32_e32 v9, s12, v28
	s_delay_alu instid0(VALU_DEP_2) | instskip(NEXT) | instid1(VALU_DEP_3)
	v_add_co_u32 v6, vcc_lo, v25, v6
	v_add_co_ci_u32_e32 v7, vcc_lo, v26, v7, vcc_lo
	global_load_b32 v8, v[6:7], off
	s_waitcnt vmcnt(0)
	v_fmac_f32_e32 v9, s28, v8
	global_store_b32 v[6:7], v9, off
.LBB2_47:                               ;   in Loop: Header=BB2_12 Depth=1
	s_cbranch_execnz .LBB2_11
	s_branch .LBB2_49
.LBB2_48:                               ;   in Loop: Header=BB2_12 Depth=1
.LBB2_49:                               ;   in Loop: Header=BB2_12 Depth=1
	v_mul_f32_e32 v6, s12, v28
	s_and_b32 vcc_lo, exec_lo, s40
	s_mov_b32 s26, -1
	s_cbranch_vccz .LBB2_51
; %bb.50:                               ;   in Loop: Header=BB2_12 Depth=1
	v_mul_lo_u32 v9, v5, s6
	v_mul_lo_u32 v10, v4, s7
	v_mad_u64_u32 v[7:8], null, v4, s6, 0
	s_mov_b32 s26, 0
	s_delay_alu instid0(VALU_DEP_1) | instskip(NEXT) | instid1(VALU_DEP_1)
	v_add3_u32 v8, v8, v10, v9
	v_lshlrev_b64 v[7:8], 2, v[7:8]
	s_delay_alu instid0(VALU_DEP_1) | instskip(NEXT) | instid1(VALU_DEP_2)
	v_add_co_u32 v7, vcc_lo, v18, v7
	v_add_co_ci_u32_e32 v8, vcc_lo, v19, v8, vcc_lo
	global_store_b32 v[7:8], v6, off
.LBB2_51:                               ;   in Loop: Header=BB2_12 Depth=1
	s_and_not1_b32 vcc_lo, exec_lo, s26
	s_cbranch_vccnz .LBB2_11
; %bb.52:                               ;   in Loop: Header=BB2_12 Depth=1
	v_lshlrev_b64 v[4:5], 2, v[4:5]
	s_delay_alu instid0(VALU_DEP_1) | instskip(NEXT) | instid1(VALU_DEP_2)
	v_add_co_u32 v4, vcc_lo, v25, v4
	v_add_co_ci_u32_e32 v5, vcc_lo, v26, v5, vcc_lo
	global_store_b32 v[4:5], v6, off
	s_branch .LBB2_11
.LBB2_53:
	s_nop 0
	s_sendmsg sendmsg(MSG_DEALLOC_VGPRS)
	s_endpgm
	.section	.rodata,"a",@progbits
	.p2align	6, 0x0
	.amdhsa_kernel _ZN9rocsparseL29bsrmm_general_blockdim_kernelILj32ELj32EllffffEEvb20rocsparse_direction_T2_S2_llNS_24const_host_device_scalarIT6_EEPKT1_PKS2_PKT3_S2_PKT4_llS5_PT5_ll16rocsparse_order_21rocsparse_index_base_b
		.amdhsa_group_segment_fixed_size 8192
		.amdhsa_private_segment_fixed_size 0
		.amdhsa_kernarg_size 148
		.amdhsa_user_sgpr_count 14
		.amdhsa_user_sgpr_dispatch_ptr 0
		.amdhsa_user_sgpr_queue_ptr 0
		.amdhsa_user_sgpr_kernarg_segment_ptr 1
		.amdhsa_user_sgpr_dispatch_id 0
		.amdhsa_user_sgpr_private_segment_size 0
		.amdhsa_wavefront_size32 1
		.amdhsa_uses_dynamic_stack 0
		.amdhsa_enable_private_segment 0
		.amdhsa_system_sgpr_workgroup_id_x 1
		.amdhsa_system_sgpr_workgroup_id_y 1
		.amdhsa_system_sgpr_workgroup_id_z 0
		.amdhsa_system_sgpr_workgroup_info 0
		.amdhsa_system_vgpr_workitem_id 1
		.amdhsa_next_free_vgpr 44
		.amdhsa_next_free_sgpr 48
		.amdhsa_reserve_vcc 1
		.amdhsa_float_round_mode_32 0
		.amdhsa_float_round_mode_16_64 0
		.amdhsa_float_denorm_mode_32 3
		.amdhsa_float_denorm_mode_16_64 3
		.amdhsa_dx10_clamp 1
		.amdhsa_ieee_mode 1
		.amdhsa_fp16_overflow 0
		.amdhsa_workgroup_processor_mode 1
		.amdhsa_memory_ordered 1
		.amdhsa_forward_progress 0
		.amdhsa_shared_vgpr_count 0
		.amdhsa_exception_fp_ieee_invalid_op 0
		.amdhsa_exception_fp_denorm_src 0
		.amdhsa_exception_fp_ieee_div_zero 0
		.amdhsa_exception_fp_ieee_overflow 0
		.amdhsa_exception_fp_ieee_underflow 0
		.amdhsa_exception_fp_ieee_inexact 0
		.amdhsa_exception_int_div_zero 0
	.end_amdhsa_kernel
	.section	.text._ZN9rocsparseL29bsrmm_general_blockdim_kernelILj32ELj32EllffffEEvb20rocsparse_direction_T2_S2_llNS_24const_host_device_scalarIT6_EEPKT1_PKS2_PKT3_S2_PKT4_llS5_PT5_ll16rocsparse_order_21rocsparse_index_base_b,"axG",@progbits,_ZN9rocsparseL29bsrmm_general_blockdim_kernelILj32ELj32EllffffEEvb20rocsparse_direction_T2_S2_llNS_24const_host_device_scalarIT6_EEPKT1_PKS2_PKT3_S2_PKT4_llS5_PT5_ll16rocsparse_order_21rocsparse_index_base_b,comdat
.Lfunc_end2:
	.size	_ZN9rocsparseL29bsrmm_general_blockdim_kernelILj32ELj32EllffffEEvb20rocsparse_direction_T2_S2_llNS_24const_host_device_scalarIT6_EEPKT1_PKS2_PKT3_S2_PKT4_llS5_PT5_ll16rocsparse_order_21rocsparse_index_base_b, .Lfunc_end2-_ZN9rocsparseL29bsrmm_general_blockdim_kernelILj32ELj32EllffffEEvb20rocsparse_direction_T2_S2_llNS_24const_host_device_scalarIT6_EEPKT1_PKS2_PKT3_S2_PKT4_llS5_PT5_ll16rocsparse_order_21rocsparse_index_base_b
                                        ; -- End function
	.section	.AMDGPU.csdata,"",@progbits
; Kernel info:
; codeLenInByte = 2604
; NumSgprs: 50
; NumVgprs: 44
; ScratchSize: 0
; MemoryBound: 0
; FloatMode: 240
; IeeeMode: 1
; LDSByteSize: 8192 bytes/workgroup (compile time only)
; SGPRBlocks: 6
; VGPRBlocks: 5
; NumSGPRsForWavesPerEU: 50
; NumVGPRsForWavesPerEU: 44
; Occupancy: 16
; WaveLimiterHint : 1
; COMPUTE_PGM_RSRC2:SCRATCH_EN: 0
; COMPUTE_PGM_RSRC2:USER_SGPR: 14
; COMPUTE_PGM_RSRC2:TRAP_HANDLER: 0
; COMPUTE_PGM_RSRC2:TGID_X_EN: 1
; COMPUTE_PGM_RSRC2:TGID_Y_EN: 1
; COMPUTE_PGM_RSRC2:TGID_Z_EN: 0
; COMPUTE_PGM_RSRC2:TIDIG_COMP_CNT: 1
	.section	.text._ZN9rocsparseL29bsrmm_general_blockdim_kernelILj32ELj32EiiddddEEvb20rocsparse_direction_T2_S2_llNS_24const_host_device_scalarIT6_EEPKT1_PKS2_PKT3_S2_PKT4_llS5_PT5_ll16rocsparse_order_21rocsparse_index_base_b,"axG",@progbits,_ZN9rocsparseL29bsrmm_general_blockdim_kernelILj32ELj32EiiddddEEvb20rocsparse_direction_T2_S2_llNS_24const_host_device_scalarIT6_EEPKT1_PKS2_PKT3_S2_PKT4_llS5_PT5_ll16rocsparse_order_21rocsparse_index_base_b,comdat
	.globl	_ZN9rocsparseL29bsrmm_general_blockdim_kernelILj32ELj32EiiddddEEvb20rocsparse_direction_T2_S2_llNS_24const_host_device_scalarIT6_EEPKT1_PKS2_PKT3_S2_PKT4_llS5_PT5_ll16rocsparse_order_21rocsparse_index_base_b ; -- Begin function _ZN9rocsparseL29bsrmm_general_blockdim_kernelILj32ELj32EiiddddEEvb20rocsparse_direction_T2_S2_llNS_24const_host_device_scalarIT6_EEPKT1_PKS2_PKT3_S2_PKT4_llS5_PT5_ll16rocsparse_order_21rocsparse_index_base_b
	.p2align	8
	.type	_ZN9rocsparseL29bsrmm_general_blockdim_kernelILj32ELj32EiiddddEEvb20rocsparse_direction_T2_S2_llNS_24const_host_device_scalarIT6_EEPKT1_PKS2_PKT3_S2_PKT4_llS5_PT5_ll16rocsparse_order_21rocsparse_index_base_b,@function
_ZN9rocsparseL29bsrmm_general_blockdim_kernelILj32ELj32EiiddddEEvb20rocsparse_direction_T2_S2_llNS_24const_host_device_scalarIT6_EEPKT1_PKS2_PKT3_S2_PKT4_llS5_PT5_ll16rocsparse_order_21rocsparse_index_base_b: ; @_ZN9rocsparseL29bsrmm_general_blockdim_kernelILj32ELj32EiiddddEEvb20rocsparse_direction_T2_S2_llNS_24const_host_device_scalarIT6_EEPKT1_PKS2_PKT3_S2_PKT4_llS5_PT5_ll16rocsparse_order_21rocsparse_index_base_b
; %bb.0:
	s_clause 0x2
	s_load_b128 s[4:7], s[0:1], 0x80
	s_load_b64 s[10:11], s[0:1], 0x20
	s_load_b64 s[8:9], s[0:1], 0x60
	s_mov_b32 s2, s15
	s_waitcnt lgkmcnt(0)
	s_bitcmp1_b32 s6, 0
	v_dual_mov_b32 v1, s10 :: v_dual_mov_b32 v2, s11
	s_cselect_b32 s3, -1, 0
	s_delay_alu instid0(SALU_CYCLE_1)
	s_and_b32 vcc_lo, exec_lo, s3
	s_xor_b32 s3, s3, -1
	s_cbranch_vccnz .LBB3_2
; %bb.1:
	v_dual_mov_b32 v1, s10 :: v_dual_mov_b32 v2, s11
	flat_load_b64 v[1:2], v[1:2]
.LBB3_2:
	v_dual_mov_b32 v3, s8 :: v_dual_mov_b32 v4, s9
	s_and_not1_b32 vcc_lo, exec_lo, s3
	s_cbranch_vccnz .LBB3_4
; %bb.3:
	v_dual_mov_b32 v3, s8 :: v_dual_mov_b32 v4, s9
	flat_load_b64 v[3:4], v[3:4]
.LBB3_4:
	s_waitcnt vmcnt(0) lgkmcnt(0)
	v_cmp_neq_f64_e32 vcc_lo, 0, v[1:2]
	v_cmp_neq_f64_e64 s3, 1.0, v[3:4]
	s_delay_alu instid0(VALU_DEP_1) | instskip(NEXT) | instid1(SALU_CYCLE_1)
	s_or_b32 s3, vcc_lo, s3
	s_and_saveexec_b32 s6, s3
	s_cbranch_execz .LBB3_56
; %bb.5:
	s_clause 0x1
	s_load_b128 s[24:27], s[0:1], 0x0
	s_load_b64 s[6:7], s[0:1], 0x28
	s_mov_b32 s3, 0
	s_mov_b32 s12, 0
	s_waitcnt lgkmcnt(0)
	s_cmp_lt_i32 s14, s26
	s_cselect_b32 s28, -1, 0
	s_cmp_ge_i32 s14, s26
	s_cbranch_scc0 .LBB3_8
; %bb.6:
	s_and_not1_b32 vcc_lo, exec_lo, s28
	s_cbranch_vccz .LBB3_9
.LBB3_7:
	s_load_b32 s13, s[0:1], 0x40
	s_waitcnt lgkmcnt(0)
	s_cmp_lt_i32 s13, 1
	s_cbranch_scc0 .LBB3_10
	s_branch .LBB3_56
.LBB3_8:
	s_ashr_i32 s15, s14, 31
	s_delay_alu instid0(SALU_CYCLE_1) | instskip(NEXT) | instid1(SALU_CYCLE_1)
	s_lshl_b64 s[8:9], s[14:15], 2
	s_add_u32 s8, s6, s8
	s_addc_u32 s9, s7, s9
	s_load_b32 s8, s[8:9], 0x0
	s_waitcnt lgkmcnt(0)
	s_sub_i32 s12, s8, s5
	s_and_not1_b32 vcc_lo, exec_lo, s28
	s_cbranch_vccnz .LBB3_7
.LBB3_9:
	s_ashr_i32 s15, s14, 31
	s_delay_alu instid0(SALU_CYCLE_1) | instskip(NEXT) | instid1(SALU_CYCLE_1)
	s_lshl_b64 s[8:9], s[14:15], 2
	s_add_u32 s6, s6, s8
	s_addc_u32 s7, s7, s9
	s_load_b32 s3, s[6:7], 0x4
	s_waitcnt lgkmcnt(0)
	s_sub_i32 s3, s3, s5
	s_load_b32 s13, s[0:1], 0x40
	s_waitcnt lgkmcnt(0)
	s_cmp_lt_i32 s13, 1
	s_cbranch_scc1 .LBB3_56
.LBB3_10:
	s_load_b128 s[8:11], s[0:1], 0x48
	v_bfe_u32 v5, v0, 10, 10
	s_clause 0x1
	s_load_b128 s[16:19], s[0:1], 0x30
	s_load_b128 s[20:23], s[0:1], 0x68
	s_bitcmp1_b32 s24, 0
	v_and_b32_e32 v0, 0x3ff, v0
	s_cselect_b32 s0, -1, 0
	v_lshl_add_u32 v6, s2, 5, v5
	s_xor_b32 s24, s0, -1
	v_cmp_neq_f64_e64 s0, 0, v[3:4]
	v_lshlrev_b32_e32 v10, 5, v5
	s_cmp_lt_i32 s12, s3
	v_ashrrev_i32_e32 v7, 31, v6
	v_cmp_gt_i32_e64 s1, s27, v6
	s_cselect_b32 s26, -1, 0
	v_add_lshl_u32 v16, v10, v0, 3
	s_cmp_lg_u32 s25, 0
	v_lshlrev_b64 v[10:11], 3, v[6:7]
	s_cselect_b32 s25, -1, 0
	s_and_b32 s27, s28, s1
	v_add_nc_u32_e32 v17, 0x2000, v16
	s_waitcnt lgkmcnt(0)
	v_mul_lo_u32 v12, v7, s10
	v_mul_lo_u32 v13, v6, s11
	v_mad_u64_u32 v[8:9], null, v6, s10, 0
	v_mul_lo_u32 v14, v7, s22
	v_mul_lo_u32 v15, v6, s23
	v_add_co_u32 v18, vcc_lo, s8, v10
	v_add_co_ci_u32_e32 v19, vcc_lo, s9, v11, vcc_lo
	v_add3_u32 v9, v9, v13, v12
	v_mad_u64_u32 v[12:13], null, v6, s22, 0
	v_lshlrev_b32_e32 v26, 3, v0
	v_lshl_add_u32 v27, v5, 8, 0x2000
	s_delay_alu instid0(VALU_DEP_4) | instskip(SKIP_4) | instid1(VALU_DEP_3)
	v_lshlrev_b64 v[6:7], 3, v[8:9]
	v_mad_u64_u32 v[8:9], null, s12, s13, v[0:1]
	s_cmp_lg_u32 s4, 1
	v_add3_u32 v13, v13, v15, v14
	s_mul_i32 s14, s14, s13
	v_add_co_u32 v20, vcc_lo, s8, v6
	v_add_co_ci_u32_e32 v21, vcc_lo, s9, v7, vcc_lo
	s_delay_alu instid0(VALU_DEP_3) | instskip(SKIP_3) | instid1(VALU_DEP_3)
	v_lshlrev_b64 v[6:7], 3, v[12:13]
	v_add_co_u32 v22, vcc_lo, s20, v10
	v_add_co_ci_u32_e32 v23, vcc_lo, s21, v11, vcc_lo
	s_mov_b32 s15, 0
	v_add_co_u32 v24, vcc_lo, s20, v6
	s_delay_alu instid0(VALU_DEP_4)
	v_add_co_ci_u32_e32 v25, vcc_lo, s21, v7, vcc_lo
	v_mad_u64_u32 v[6:7], null, s13, v8, v[5:6]
	s_cselect_b32 s4, -1, 0
	s_lshl_b32 s20, s13, 5
	s_mul_i32 s21, s13, s13
	s_branch .LBB3_12
.LBB3_11:                               ;   in Loop: Header=BB3_12 Depth=1
	s_or_b32 exec_lo, exec_lo, s2
	v_add_nc_u32_e32 v6, s20, v6
	s_add_i32 s15, s15, 32
	s_delay_alu instid0(SALU_CYCLE_1)
	s_cmp_lt_i32 s15, s13
	s_cbranch_scc0 .LBB3_56
.LBB3_12:                               ; =>This Loop Header: Depth=1
                                        ;     Child Loop BB3_15 Depth 2
                                        ;       Child Loop BB3_17 Depth 3
	v_dual_mov_b32 v10, 0 :: v_dual_add_nc_u32 v7, s15, v0
	v_mov_b32_e32 v11, 0
	s_and_not1_b32 vcc_lo, exec_lo, s26
	s_delay_alu instid0(VALU_DEP_2)
	v_cmp_gt_i32_e64 s2, s13, v7
	s_cbranch_vccnz .LBB3_45
; %bb.13:                               ;   in Loop: Header=BB3_12 Depth=1
	v_mov_b32_e32 v10, 0
	v_dual_mov_b32 v11, 0 :: v_dual_mov_b32 v28, v6
	s_mov_b32 s6, s12
	s_branch .LBB3_15
.LBB3_14:                               ;   in Loop: Header=BB3_15 Depth=2
	v_add_nc_u32_e32 v28, s21, v28
	s_add_i32 s6, s6, 1
	s_delay_alu instid0(SALU_CYCLE_1)
	s_cmp_ge_i32 s6, s3
	s_cbranch_scc1 .LBB3_45
.LBB3_15:                               ;   Parent Loop BB3_12 Depth=1
                                        ; =>  This Loop Header: Depth=2
                                        ;       Child Loop BB3_17 Depth 3
	s_ashr_i32 s7, s6, 31
	s_mov_b32 s28, 0
	s_lshl_b64 s[8:9], s[6:7], 2
	s_delay_alu instid0(SALU_CYCLE_1) | instskip(SKIP_4) | instid1(SALU_CYCLE_1)
	s_add_u32 s8, s16, s8
	s_addc_u32 s9, s17, s9
	s_load_b32 s7, s[8:9], 0x0
	s_waitcnt lgkmcnt(0)
	s_sub_i32 s7, s7, s5
	v_mad_u64_u32 v[8:9], null, s7, s13, v[0:1]
	s_mul_i32 s7, s6, s13
	s_branch .LBB3_17
.LBB3_16:                               ;   in Loop: Header=BB3_17 Depth=3
	s_or_b32 exec_lo, exec_lo, s8
	s_waitcnt vmcnt(0)
	ds_store_b64 v16, v[13:14]
	s_waitcnt lgkmcnt(0)
	s_waitcnt_vscnt null, 0x0
	s_barrier
	buffer_gl0_inv
	ds_load_2addr_b64 v[12:15], v26 offset1:32
	ds_load_b128 v[29:32], v27
	ds_load_b128 v[33:36], v27 offset:16
	s_add_i32 s28, s28, 32
	s_delay_alu instid0(SALU_CYCLE_1) | instskip(SKIP_2) | instid1(VALU_DEP_1)
	s_cmp_ge_i32 s28, s13
	s_waitcnt lgkmcnt(1)
	v_fma_f64 v[9:10], v[12:13], v[29:30], v[10:11]
	v_fma_f64 v[13:14], v[14:15], v[31:32], v[9:10]
	ds_load_2addr_b64 v[9:12], v26 offset0:64 offset1:96
	v_add_nc_u32_e32 v15, 0x800, v26
	s_waitcnt lgkmcnt(0)
	v_fma_f64 v[9:10], v[9:10], v[33:34], v[13:14]
	s_delay_alu instid0(VALU_DEP_1)
	v_fma_f64 v[13:14], v[11:12], v[35:36], v[9:10]
	ds_load_2addr_b64 v[9:12], v26 offset0:128 offset1:160
	ds_load_b128 v[29:32], v27 offset:32
	ds_load_b128 v[33:36], v27 offset:48
	s_waitcnt lgkmcnt(1)
	v_fma_f64 v[9:10], v[9:10], v[29:30], v[13:14]
	s_delay_alu instid0(VALU_DEP_1) | instskip(SKIP_3) | instid1(VALU_DEP_1)
	v_fma_f64 v[13:14], v[11:12], v[31:32], v[9:10]
	ds_load_2addr_b64 v[9:12], v26 offset0:192 offset1:224
	s_waitcnt lgkmcnt(0)
	v_fma_f64 v[9:10], v[9:10], v[33:34], v[13:14]
	v_fma_f64 v[13:14], v[11:12], v[35:36], v[9:10]
	ds_load_2addr_b64 v[9:12], v15 offset1:32
	ds_load_b128 v[29:32], v27 offset:64
	ds_load_b128 v[33:36], v27 offset:80
	s_waitcnt lgkmcnt(1)
	v_fma_f64 v[9:10], v[9:10], v[29:30], v[13:14]
	s_delay_alu instid0(VALU_DEP_1) | instskip(SKIP_3) | instid1(VALU_DEP_1)
	v_fma_f64 v[13:14], v[11:12], v[31:32], v[9:10]
	ds_load_2addr_b64 v[9:12], v15 offset0:64 offset1:96
	s_waitcnt lgkmcnt(0)
	v_fma_f64 v[9:10], v[9:10], v[33:34], v[13:14]
	v_fma_f64 v[13:14], v[11:12], v[35:36], v[9:10]
	ds_load_2addr_b64 v[9:12], v15 offset0:128 offset1:160
	ds_load_b128 v[29:32], v27 offset:96
	ds_load_b128 v[33:36], v27 offset:112
	s_waitcnt lgkmcnt(1)
	v_fma_f64 v[9:10], v[9:10], v[29:30], v[13:14]
	s_delay_alu instid0(VALU_DEP_1) | instskip(SKIP_4) | instid1(VALU_DEP_1)
	v_fma_f64 v[13:14], v[11:12], v[31:32], v[9:10]
	ds_load_2addr_b64 v[9:12], v15 offset0:192 offset1:224
	v_add_nc_u32_e32 v15, 0x1000, v26
	s_waitcnt lgkmcnt(0)
	v_fma_f64 v[9:10], v[9:10], v[33:34], v[13:14]
	v_fma_f64 v[13:14], v[11:12], v[35:36], v[9:10]
	ds_load_2addr_b64 v[9:12], v15 offset1:32
	ds_load_b128 v[29:32], v27 offset:128
	ds_load_b128 v[33:36], v27 offset:144
	s_waitcnt lgkmcnt(1)
	v_fma_f64 v[9:10], v[9:10], v[29:30], v[13:14]
	s_delay_alu instid0(VALU_DEP_1) | instskip(SKIP_3) | instid1(VALU_DEP_1)
	v_fma_f64 v[13:14], v[11:12], v[31:32], v[9:10]
	ds_load_2addr_b64 v[9:12], v15 offset0:64 offset1:96
	s_waitcnt lgkmcnt(0)
	v_fma_f64 v[9:10], v[9:10], v[33:34], v[13:14]
	v_fma_f64 v[13:14], v[11:12], v[35:36], v[9:10]
	ds_load_2addr_b64 v[9:12], v15 offset0:128 offset1:160
	ds_load_b128 v[29:32], v27 offset:160
	ds_load_b128 v[33:36], v27 offset:176
	s_waitcnt lgkmcnt(1)
	v_fma_f64 v[9:10], v[9:10], v[29:30], v[13:14]
	s_delay_alu instid0(VALU_DEP_1) | instskip(SKIP_4) | instid1(VALU_DEP_1)
	v_fma_f64 v[13:14], v[11:12], v[31:32], v[9:10]
	ds_load_2addr_b64 v[9:12], v15 offset0:192 offset1:224
	v_add_nc_u32_e32 v15, 0x1800, v26
	s_waitcnt lgkmcnt(0)
	v_fma_f64 v[9:10], v[9:10], v[33:34], v[13:14]
	v_fma_f64 v[13:14], v[11:12], v[35:36], v[9:10]
	ds_load_2addr_b64 v[9:12], v15 offset1:32
	ds_load_b128 v[29:32], v27 offset:192
	ds_load_b128 v[33:36], v27 offset:208
	s_waitcnt lgkmcnt(1)
	v_fma_f64 v[9:10], v[9:10], v[29:30], v[13:14]
	s_delay_alu instid0(VALU_DEP_1) | instskip(SKIP_3) | instid1(VALU_DEP_1)
	v_fma_f64 v[13:14], v[11:12], v[31:32], v[9:10]
	ds_load_2addr_b64 v[9:12], v15 offset0:64 offset1:96
	s_waitcnt lgkmcnt(0)
	v_fma_f64 v[9:10], v[9:10], v[33:34], v[13:14]
	v_fma_f64 v[13:14], v[11:12], v[35:36], v[9:10]
	ds_load_2addr_b64 v[9:12], v15 offset0:128 offset1:160
	ds_load_b128 v[29:32], v27 offset:224
	ds_load_b128 v[33:36], v27 offset:240
	s_waitcnt lgkmcnt(1)
	v_fma_f64 v[9:10], v[9:10], v[29:30], v[13:14]
	s_delay_alu instid0(VALU_DEP_1)
	v_fma_f64 v[13:14], v[11:12], v[31:32], v[9:10]
	ds_load_2addr_b64 v[9:12], v15 offset0:192 offset1:224
	s_waitcnt lgkmcnt(0)
	s_barrier
	buffer_gl0_inv
	v_fma_f64 v[9:10], v[9:10], v[33:34], v[13:14]
	s_delay_alu instid0(VALU_DEP_1)
	v_fma_f64 v[10:11], v[11:12], v[35:36], v[9:10]
	s_cbranch_scc1 .LBB3_14
.LBB3_17:                               ;   Parent Loop BB3_12 Depth=1
                                        ;     Parent Loop BB3_15 Depth=2
                                        ; =>    This Inner Loop Header: Depth=3
	s_and_b32 vcc_lo, exec_lo, s24
	s_cbranch_vccz .LBB3_23
; %bb.18:                               ;   in Loop: Header=BB3_17 Depth=3
	s_mov_b32 s30, 0
	s_mov_b32 s29, 0
                                        ; implicit-def: $vgpr12_vgpr13
	s_and_saveexec_b32 s8, s1
	s_cbranch_execz .LBB3_22
; %bb.19:                               ;   in Loop: Header=BB3_17 Depth=3
	v_add_nc_u32_e32 v9, s28, v0
	s_mov_b32 s9, 0
	s_mov_b32 s29, exec_lo
                                        ; implicit-def: $vgpr12_vgpr13
	s_delay_alu instid0(VALU_DEP_1)
	v_cmpx_gt_i32_e64 s13, v9
	s_xor_b32 s29, exec_lo, s29
; %bb.20:                               ;   in Loop: Header=BB3_17 Depth=3
	v_add_nc_u32_e32 v9, s28, v8
	s_mov_b32 s9, exec_lo
	s_delay_alu instid0(VALU_DEP_1) | instskip(SKIP_2) | instid1(VALU_DEP_3)
	v_ashrrev_i32_e32 v14, 31, v9
	v_mul_lo_u32 v15, v9, s11
	v_mad_u64_u32 v[12:13], null, v9, s10, 0
	v_mul_lo_u32 v9, v14, s10
	s_delay_alu instid0(VALU_DEP_1) | instskip(NEXT) | instid1(VALU_DEP_1)
	v_add3_u32 v13, v13, v15, v9
	v_lshlrev_b64 v[12:13], 3, v[12:13]
	s_delay_alu instid0(VALU_DEP_1) | instskip(NEXT) | instid1(VALU_DEP_2)
	v_add_co_u32 v12, vcc_lo, v18, v12
	v_add_co_ci_u32_e32 v13, vcc_lo, v19, v13, vcc_lo
; %bb.21:                               ;   in Loop: Header=BB3_17 Depth=3
	s_or_b32 exec_lo, exec_lo, s29
	s_delay_alu instid0(SALU_CYCLE_1)
	s_and_b32 s29, s9, exec_lo
.LBB3_22:                               ;   in Loop: Header=BB3_17 Depth=3
	s_or_b32 exec_lo, exec_lo, s8
	s_mov_b64 s[8:9], 0
	s_and_b32 vcc_lo, exec_lo, s30
	s_cbranch_vccnz .LBB3_24
	s_branch .LBB3_29
.LBB3_23:                               ;   in Loop: Header=BB3_17 Depth=3
	s_mov_b32 s29, 0
                                        ; implicit-def: $vgpr12_vgpr13
                                        ; implicit-def: $sgpr8_sgpr9
	s_cbranch_execz .LBB3_29
.LBB3_24:                               ;   in Loop: Header=BB3_17 Depth=3
                                        ; implicit-def: $vgpr12_vgpr13
	s_and_saveexec_b32 s8, s1
	s_cbranch_execz .LBB3_28
; %bb.25:                               ;   in Loop: Header=BB3_17 Depth=3
	v_add_nc_u32_e32 v9, s28, v0
	s_mov_b32 s30, s29
	s_mov_b32 s9, exec_lo
                                        ; implicit-def: $vgpr12_vgpr13
	s_delay_alu instid0(VALU_DEP_1)
	v_cmpx_gt_i32_e64 s13, v9
; %bb.26:                               ;   in Loop: Header=BB3_17 Depth=3
	v_add_nc_u32_e32 v12, s28, v8
	s_or_b32 s30, s29, exec_lo
	s_delay_alu instid0(VALU_DEP_1) | instskip(NEXT) | instid1(VALU_DEP_1)
	v_ashrrev_i32_e32 v13, 31, v12
	v_lshlrev_b64 v[12:13], 3, v[12:13]
	s_delay_alu instid0(VALU_DEP_1) | instskip(NEXT) | instid1(VALU_DEP_2)
	v_add_co_u32 v12, vcc_lo, v20, v12
	v_add_co_ci_u32_e32 v13, vcc_lo, v21, v13, vcc_lo
; %bb.27:                               ;   in Loop: Header=BB3_17 Depth=3
	s_or_b32 exec_lo, exec_lo, s9
	s_delay_alu instid0(SALU_CYCLE_1) | instskip(SKIP_1) | instid1(SALU_CYCLE_1)
	s_and_not1_b32 s9, s29, exec_lo
	s_and_b32 s29, s30, exec_lo
	s_or_b32 s29, s9, s29
.LBB3_28:                               ;   in Loop: Header=BB3_17 Depth=3
	s_or_b32 exec_lo, exec_lo, s8
	s_mov_b64 s[8:9], 0
.LBB3_29:                               ;   in Loop: Header=BB3_17 Depth=3
	s_delay_alu instid0(SALU_CYCLE_1)
	v_dual_mov_b32 v15, s9 :: v_dual_mov_b32 v14, s8
	s_and_saveexec_b32 s8, s29
	s_cbranch_execnz .LBB3_37
; %bb.30:                               ;   in Loop: Header=BB3_17 Depth=3
	s_or_b32 exec_lo, exec_lo, s8
	s_delay_alu instid0(SALU_CYCLE_1)
	s_and_b32 vcc_lo, exec_lo, s25
	ds_store_b64 v17, v[14:15]
	s_cbranch_vccz .LBB3_38
.LBB3_31:                               ;   in Loop: Header=BB3_17 Depth=3
	s_mov_b32 s30, 0
	s_mov_b32 s29, 0
                                        ; implicit-def: $vgpr12
	s_and_saveexec_b32 s8, s2
	s_cbranch_execz .LBB3_35
; %bb.32:                               ;   in Loop: Header=BB3_17 Depth=3
	v_add_nc_u32_e32 v9, s28, v5
	s_mov_b32 s9, 0
	s_mov_b32 s29, exec_lo
                                        ; implicit-def: $vgpr12
	s_delay_alu instid0(VALU_DEP_1)
	v_cmpx_gt_i32_e64 s13, v9
	s_xor_b32 s29, exec_lo, s29
; %bb.33:                               ;   in Loop: Header=BB3_17 Depth=3
	v_add_nc_u32_e32 v9, s7, v9
	s_mov_b32 s9, exec_lo
	s_delay_alu instid0(VALU_DEP_1)
	v_mad_u64_u32 v[12:13], null, v9, s13, v[7:8]
; %bb.34:                               ;   in Loop: Header=BB3_17 Depth=3
	s_or_b32 exec_lo, exec_lo, s29
	s_delay_alu instid0(SALU_CYCLE_1)
	s_and_b32 s29, s9, exec_lo
.LBB3_35:                               ;   in Loop: Header=BB3_17 Depth=3
	s_or_b32 exec_lo, exec_lo, s8
	s_mov_b64 s[8:9], 0
	s_and_b32 vcc_lo, exec_lo, s30
	s_cbranch_vccnz .LBB3_39
.LBB3_36:                               ;   in Loop: Header=BB3_17 Depth=3
	v_dual_mov_b32 v14, s9 :: v_dual_mov_b32 v13, s8
	s_and_saveexec_b32 s8, s29
	s_cbranch_execz .LBB3_16
	s_branch .LBB3_44
.LBB3_37:                               ;   in Loop: Header=BB3_17 Depth=3
	global_load_b64 v[14:15], v[12:13], off
	s_or_b32 exec_lo, exec_lo, s8
	s_delay_alu instid0(SALU_CYCLE_1)
	s_and_b32 vcc_lo, exec_lo, s25
	s_waitcnt vmcnt(0)
	ds_store_b64 v17, v[14:15]
	s_cbranch_vccnz .LBB3_31
.LBB3_38:                               ;   in Loop: Header=BB3_17 Depth=3
	s_mov_b32 s29, 0
                                        ; implicit-def: $vgpr12
                                        ; implicit-def: $sgpr8_sgpr9
	s_cbranch_execz .LBB3_36
.LBB3_39:                               ;   in Loop: Header=BB3_17 Depth=3
                                        ; implicit-def: $vgpr12
	s_and_saveexec_b32 s8, s2
	s_cbranch_execz .LBB3_43
; %bb.40:                               ;   in Loop: Header=BB3_17 Depth=3
	v_add_nc_u32_e32 v9, s28, v5
	s_mov_b32 s9, s29
	s_mov_b32 s30, exec_lo
                                        ; implicit-def: $vgpr12
	s_delay_alu instid0(VALU_DEP_1)
	v_cmpx_gt_i32_e64 s13, v9
; %bb.41:                               ;   in Loop: Header=BB3_17 Depth=3
	v_add_nc_u32_e32 v12, s28, v28
	s_or_b32 s9, s29, exec_lo
; %bb.42:                               ;   in Loop: Header=BB3_17 Depth=3
	s_or_b32 exec_lo, exec_lo, s30
	s_delay_alu instid0(SALU_CYCLE_1) | instskip(SKIP_1) | instid1(SALU_CYCLE_1)
	s_and_not1_b32 s29, s29, exec_lo
	s_and_b32 s9, s9, exec_lo
	s_or_b32 s29, s29, s9
.LBB3_43:                               ;   in Loop: Header=BB3_17 Depth=3
	s_or_b32 exec_lo, exec_lo, s8
	s_mov_b64 s[8:9], 0
	s_delay_alu instid0(SALU_CYCLE_1)
	v_dual_mov_b32 v14, s9 :: v_dual_mov_b32 v13, s8
	s_and_saveexec_b32 s8, s29
	s_cbranch_execz .LBB3_16
.LBB3_44:                               ;   in Loop: Header=BB3_17 Depth=3
	v_ashrrev_i32_e32 v13, 31, v12
	s_delay_alu instid0(VALU_DEP_1) | instskip(NEXT) | instid1(VALU_DEP_1)
	v_lshlrev_b64 v[12:13], 3, v[12:13]
	v_add_co_u32 v12, vcc_lo, s18, v12
	s_delay_alu instid0(VALU_DEP_2)
	v_add_co_ci_u32_e32 v13, vcc_lo, s19, v13, vcc_lo
	global_load_b64 v[13:14], v[12:13], off
	s_branch .LBB3_16
.LBB3_45:                               ;   in Loop: Header=BB3_12 Depth=1
	v_cmp_gt_i32_e32 vcc_lo, s13, v7
	s_and_b32 s6, s27, vcc_lo
	s_delay_alu instid0(SALU_CYCLE_1)
	s_and_saveexec_b32 s2, s6
	s_cbranch_execz .LBB3_11
; %bb.46:                               ;   in Loop: Header=BB3_12 Depth=1
	v_add_nc_u32_e32 v7, s14, v7
	s_delay_alu instid0(VALU_DEP_1) | instskip(SKIP_1) | instid1(SALU_CYCLE_1)
	v_ashrrev_i32_e32 v8, 31, v7
	s_and_saveexec_b32 s6, s0
	s_xor_b32 s6, exec_lo, s6
	s_cbranch_execz .LBB3_51
; %bb.47:                               ;   in Loop: Header=BB3_12 Depth=1
	s_and_b32 vcc_lo, exec_lo, s4
	s_mov_b32 s7, -1
	s_cbranch_vccz .LBB3_49
; %bb.48:                               ;   in Loop: Header=BB3_12 Depth=1
	v_mul_lo_u32 v9, v8, s22
	v_mul_lo_u32 v14, v7, s23
	v_mad_u64_u32 v[12:13], null, v7, s22, 0
	v_mul_f64 v[28:29], v[1:2], v[10:11]
	s_mov_b32 s7, 0
	s_delay_alu instid0(VALU_DEP_2) | instskip(NEXT) | instid1(VALU_DEP_1)
	v_add3_u32 v13, v13, v14, v9
	v_lshlrev_b64 v[12:13], 3, v[12:13]
	s_delay_alu instid0(VALU_DEP_1) | instskip(NEXT) | instid1(VALU_DEP_2)
	v_add_co_u32 v12, vcc_lo, v22, v12
	v_add_co_ci_u32_e32 v13, vcc_lo, v23, v13, vcc_lo
	global_load_b64 v[14:15], v[12:13], off
	s_waitcnt vmcnt(0)
	v_fma_f64 v[14:15], v[3:4], v[14:15], v[28:29]
	global_store_b64 v[12:13], v[14:15], off
.LBB3_49:                               ;   in Loop: Header=BB3_12 Depth=1
	s_and_not1_b32 vcc_lo, exec_lo, s7
	s_cbranch_vccnz .LBB3_51
; %bb.50:                               ;   in Loop: Header=BB3_12 Depth=1
	v_lshlrev_b64 v[7:8], 3, v[7:8]
	v_mul_f64 v[9:10], v[1:2], v[10:11]
	s_delay_alu instid0(VALU_DEP_2) | instskip(NEXT) | instid1(VALU_DEP_3)
	v_add_co_u32 v7, vcc_lo, v24, v7
	v_add_co_ci_u32_e32 v8, vcc_lo, v25, v8, vcc_lo
	global_load_b64 v[12:13], v[7:8], off
	s_waitcnt vmcnt(0)
	v_fma_f64 v[9:10], v[3:4], v[12:13], v[9:10]
	global_store_b64 v[7:8], v[9:10], off
                                        ; implicit-def: $vgpr10_vgpr11
                                        ; implicit-def: $vgpr7
.LBB3_51:                               ;   in Loop: Header=BB3_12 Depth=1
	s_and_not1_saveexec_b32 s6, s6
	s_cbranch_execz .LBB3_11
; %bb.52:                               ;   in Loop: Header=BB3_12 Depth=1
	v_mul_f64 v[9:10], v[1:2], v[10:11]
	s_and_b32 vcc_lo, exec_lo, s4
	s_mov_b32 s6, -1
	s_cbranch_vccz .LBB3_54
; %bb.53:                               ;   in Loop: Header=BB3_12 Depth=1
	v_mul_lo_u32 v13, v8, s22
	v_mul_lo_u32 v14, v7, s23
	v_mad_u64_u32 v[11:12], null, v7, s22, 0
	s_mov_b32 s6, 0
	s_delay_alu instid0(VALU_DEP_1) | instskip(NEXT) | instid1(VALU_DEP_1)
	v_add3_u32 v12, v12, v14, v13
	v_lshlrev_b64 v[11:12], 3, v[11:12]
	s_delay_alu instid0(VALU_DEP_1) | instskip(NEXT) | instid1(VALU_DEP_2)
	v_add_co_u32 v11, vcc_lo, v22, v11
	v_add_co_ci_u32_e32 v12, vcc_lo, v23, v12, vcc_lo
	global_store_b64 v[11:12], v[9:10], off
.LBB3_54:                               ;   in Loop: Header=BB3_12 Depth=1
	s_and_not1_b32 vcc_lo, exec_lo, s6
	s_cbranch_vccnz .LBB3_11
; %bb.55:                               ;   in Loop: Header=BB3_12 Depth=1
	v_lshlrev_b64 v[7:8], 3, v[7:8]
	s_delay_alu instid0(VALU_DEP_1) | instskip(NEXT) | instid1(VALU_DEP_2)
	v_add_co_u32 v7, vcc_lo, v24, v7
	v_add_co_ci_u32_e32 v8, vcc_lo, v25, v8, vcc_lo
	global_store_b64 v[7:8], v[9:10], off
	s_branch .LBB3_11
.LBB3_56:
	s_nop 0
	s_sendmsg sendmsg(MSG_DEALLOC_VGPRS)
	s_endpgm
	.section	.rodata,"a",@progbits
	.p2align	6, 0x0
	.amdhsa_kernel _ZN9rocsparseL29bsrmm_general_blockdim_kernelILj32ELj32EiiddddEEvb20rocsparse_direction_T2_S2_llNS_24const_host_device_scalarIT6_EEPKT1_PKS2_PKT3_S2_PKT4_llS5_PT5_ll16rocsparse_order_21rocsparse_index_base_b
		.amdhsa_group_segment_fixed_size 16384
		.amdhsa_private_segment_fixed_size 0
		.amdhsa_kernarg_size 140
		.amdhsa_user_sgpr_count 14
		.amdhsa_user_sgpr_dispatch_ptr 0
		.amdhsa_user_sgpr_queue_ptr 0
		.amdhsa_user_sgpr_kernarg_segment_ptr 1
		.amdhsa_user_sgpr_dispatch_id 0
		.amdhsa_user_sgpr_private_segment_size 0
		.amdhsa_wavefront_size32 1
		.amdhsa_uses_dynamic_stack 0
		.amdhsa_enable_private_segment 0
		.amdhsa_system_sgpr_workgroup_id_x 1
		.amdhsa_system_sgpr_workgroup_id_y 1
		.amdhsa_system_sgpr_workgroup_id_z 0
		.amdhsa_system_sgpr_workgroup_info 0
		.amdhsa_system_vgpr_workitem_id 1
		.amdhsa_next_free_vgpr 37
		.amdhsa_next_free_sgpr 31
		.amdhsa_reserve_vcc 1
		.amdhsa_float_round_mode_32 0
		.amdhsa_float_round_mode_16_64 0
		.amdhsa_float_denorm_mode_32 3
		.amdhsa_float_denorm_mode_16_64 3
		.amdhsa_dx10_clamp 1
		.amdhsa_ieee_mode 1
		.amdhsa_fp16_overflow 0
		.amdhsa_workgroup_processor_mode 1
		.amdhsa_memory_ordered 1
		.amdhsa_forward_progress 0
		.amdhsa_shared_vgpr_count 0
		.amdhsa_exception_fp_ieee_invalid_op 0
		.amdhsa_exception_fp_denorm_src 0
		.amdhsa_exception_fp_ieee_div_zero 0
		.amdhsa_exception_fp_ieee_overflow 0
		.amdhsa_exception_fp_ieee_underflow 0
		.amdhsa_exception_fp_ieee_inexact 0
		.amdhsa_exception_int_div_zero 0
	.end_amdhsa_kernel
	.section	.text._ZN9rocsparseL29bsrmm_general_blockdim_kernelILj32ELj32EiiddddEEvb20rocsparse_direction_T2_S2_llNS_24const_host_device_scalarIT6_EEPKT1_PKS2_PKT3_S2_PKT4_llS5_PT5_ll16rocsparse_order_21rocsparse_index_base_b,"axG",@progbits,_ZN9rocsparseL29bsrmm_general_blockdim_kernelILj32ELj32EiiddddEEvb20rocsparse_direction_T2_S2_llNS_24const_host_device_scalarIT6_EEPKT1_PKS2_PKT3_S2_PKT4_llS5_PT5_ll16rocsparse_order_21rocsparse_index_base_b,comdat
.Lfunc_end3:
	.size	_ZN9rocsparseL29bsrmm_general_blockdim_kernelILj32ELj32EiiddddEEvb20rocsparse_direction_T2_S2_llNS_24const_host_device_scalarIT6_EEPKT1_PKS2_PKT3_S2_PKT4_llS5_PT5_ll16rocsparse_order_21rocsparse_index_base_b, .Lfunc_end3-_ZN9rocsparseL29bsrmm_general_blockdim_kernelILj32ELj32EiiddddEEvb20rocsparse_direction_T2_S2_llNS_24const_host_device_scalarIT6_EEPKT1_PKS2_PKT3_S2_PKT4_llS5_PT5_ll16rocsparse_order_21rocsparse_index_base_b
                                        ; -- End function
	.section	.AMDGPU.csdata,"",@progbits
; Kernel info:
; codeLenInByte = 2496
; NumSgprs: 33
; NumVgprs: 37
; ScratchSize: 0
; MemoryBound: 0
; FloatMode: 240
; IeeeMode: 1
; LDSByteSize: 16384 bytes/workgroup (compile time only)
; SGPRBlocks: 4
; VGPRBlocks: 4
; NumSGPRsForWavesPerEU: 33
; NumVGPRsForWavesPerEU: 37
; Occupancy: 16
; WaveLimiterHint : 1
; COMPUTE_PGM_RSRC2:SCRATCH_EN: 0
; COMPUTE_PGM_RSRC2:USER_SGPR: 14
; COMPUTE_PGM_RSRC2:TRAP_HANDLER: 0
; COMPUTE_PGM_RSRC2:TGID_X_EN: 1
; COMPUTE_PGM_RSRC2:TGID_Y_EN: 1
; COMPUTE_PGM_RSRC2:TGID_Z_EN: 0
; COMPUTE_PGM_RSRC2:TIDIG_COMP_CNT: 1
	.section	.text._ZN9rocsparseL29bsrmm_general_blockdim_kernelILj32ELj32EliddddEEvb20rocsparse_direction_T2_S2_llNS_24const_host_device_scalarIT6_EEPKT1_PKS2_PKT3_S2_PKT4_llS5_PT5_ll16rocsparse_order_21rocsparse_index_base_b,"axG",@progbits,_ZN9rocsparseL29bsrmm_general_blockdim_kernelILj32ELj32EliddddEEvb20rocsparse_direction_T2_S2_llNS_24const_host_device_scalarIT6_EEPKT1_PKS2_PKT3_S2_PKT4_llS5_PT5_ll16rocsparse_order_21rocsparse_index_base_b,comdat
	.globl	_ZN9rocsparseL29bsrmm_general_blockdim_kernelILj32ELj32EliddddEEvb20rocsparse_direction_T2_S2_llNS_24const_host_device_scalarIT6_EEPKT1_PKS2_PKT3_S2_PKT4_llS5_PT5_ll16rocsparse_order_21rocsparse_index_base_b ; -- Begin function _ZN9rocsparseL29bsrmm_general_blockdim_kernelILj32ELj32EliddddEEvb20rocsparse_direction_T2_S2_llNS_24const_host_device_scalarIT6_EEPKT1_PKS2_PKT3_S2_PKT4_llS5_PT5_ll16rocsparse_order_21rocsparse_index_base_b
	.p2align	8
	.type	_ZN9rocsparseL29bsrmm_general_blockdim_kernelILj32ELj32EliddddEEvb20rocsparse_direction_T2_S2_llNS_24const_host_device_scalarIT6_EEPKT1_PKS2_PKT3_S2_PKT4_llS5_PT5_ll16rocsparse_order_21rocsparse_index_base_b,@function
_ZN9rocsparseL29bsrmm_general_blockdim_kernelILj32ELj32EliddddEEvb20rocsparse_direction_T2_S2_llNS_24const_host_device_scalarIT6_EEPKT1_PKS2_PKT3_S2_PKT4_llS5_PT5_ll16rocsparse_order_21rocsparse_index_base_b: ; @_ZN9rocsparseL29bsrmm_general_blockdim_kernelILj32ELj32EliddddEEvb20rocsparse_direction_T2_S2_llNS_24const_host_device_scalarIT6_EEPKT1_PKS2_PKT3_S2_PKT4_llS5_PT5_ll16rocsparse_order_21rocsparse_index_base_b
; %bb.0:
	s_clause 0x2
	s_load_b128 s[4:7], s[0:1], 0x80
	s_load_b64 s[10:11], s[0:1], 0x20
	s_load_b64 s[8:9], s[0:1], 0x60
	s_mov_b32 s2, s15
	s_waitcnt lgkmcnt(0)
	s_bitcmp1_b32 s6, 0
	v_dual_mov_b32 v1, s10 :: v_dual_mov_b32 v2, s11
	s_cselect_b32 s3, -1, 0
	s_delay_alu instid0(SALU_CYCLE_1)
	s_and_b32 vcc_lo, exec_lo, s3
	s_xor_b32 s3, s3, -1
	s_cbranch_vccnz .LBB4_2
; %bb.1:
	v_dual_mov_b32 v1, s10 :: v_dual_mov_b32 v2, s11
	flat_load_b64 v[1:2], v[1:2]
.LBB4_2:
	v_dual_mov_b32 v3, s8 :: v_dual_mov_b32 v4, s9
	s_and_not1_b32 vcc_lo, exec_lo, s3
	s_cbranch_vccnz .LBB4_4
; %bb.3:
	v_dual_mov_b32 v3, s8 :: v_dual_mov_b32 v4, s9
	flat_load_b64 v[3:4], v[3:4]
.LBB4_4:
	s_waitcnt vmcnt(0) lgkmcnt(0)
	v_cmp_neq_f64_e32 vcc_lo, 0, v[1:2]
	v_cmp_neq_f64_e64 s3, 1.0, v[3:4]
	s_mov_b64 s[6:7], 0
	s_delay_alu instid0(VALU_DEP_1) | instskip(NEXT) | instid1(SALU_CYCLE_1)
	s_or_b32 s3, vcc_lo, s3
	s_and_saveexec_b32 s8, s3
	s_cbranch_execz .LBB4_52
; %bb.5:
	s_clause 0x1
	s_load_b128 s[24:27], s[0:1], 0x0
	s_load_b64 s[8:9], s[0:1], 0x28
	s_waitcnt lgkmcnt(0)
	s_cmp_lt_i32 s14, s26
	s_cselect_b32 s29, -1, 0
	s_cmp_ge_i32 s14, s26
	s_cbranch_scc0 .LBB4_8
; %bb.6:
	s_and_not1_b32 vcc_lo, exec_lo, s29
	s_mov_b64 s[12:13], 0
	s_cbranch_vccz .LBB4_9
.LBB4_7:
	s_load_b32 s3, s[0:1], 0x40
	s_waitcnt lgkmcnt(0)
	s_cmp_lt_i32 s3, 1
	s_cbranch_scc0 .LBB4_10
	s_branch .LBB4_52
.LBB4_8:
	s_ashr_i32 s15, s14, 31
	s_delay_alu instid0(SALU_CYCLE_1) | instskip(NEXT) | instid1(SALU_CYCLE_1)
	s_lshl_b64 s[6:7], s[14:15], 3
	s_add_u32 s6, s8, s6
	s_addc_u32 s7, s9, s7
	s_load_b64 s[6:7], s[6:7], 0x0
	s_waitcnt lgkmcnt(0)
	s_sub_u32 s6, s6, s5
	s_subb_u32 s7, s7, 0
	s_and_not1_b32 vcc_lo, exec_lo, s29
	s_mov_b64 s[12:13], 0
	s_cbranch_vccnz .LBB4_7
.LBB4_9:
	s_ashr_i32 s15, s14, 31
	s_delay_alu instid0(SALU_CYCLE_1) | instskip(NEXT) | instid1(SALU_CYCLE_1)
	s_lshl_b64 s[10:11], s[14:15], 3
	s_add_u32 s8, s8, s10
	s_addc_u32 s9, s9, s11
	s_load_b64 s[8:9], s[8:9], 0x8
	s_waitcnt lgkmcnt(0)
	s_sub_u32 s12, s8, s5
	s_subb_u32 s13, s9, 0
	s_load_b32 s3, s[0:1], 0x40
	s_waitcnt lgkmcnt(0)
	s_cmp_lt_i32 s3, 1
	s_cbranch_scc1 .LBB4_52
.LBB4_10:
	s_load_b128 s[8:11], s[0:1], 0x48
	v_bfe_u32 v14, v0, 10, 10
	s_clause 0x1
	s_load_b128 s[16:19], s[0:1], 0x30
	s_load_b128 s[20:23], s[0:1], 0x68
	s_bitcmp1_b32 s24, 0
	v_and_b32_e32 v0, 0x3ff, v0
	s_cselect_b32 s0, -1, 0
	v_lshl_add_u32 v5, s2, 5, v14
	s_xor_b32 s28, s0, -1
	v_cmp_neq_f64_e64 s0, 0, v[3:4]
	v_lshlrev_b32_e32 v9, 5, v14
	s_cmp_lg_u32 s25, 0
	v_ashrrev_i32_e32 v6, 31, v5
	v_cmp_gt_i32_e64 s1, s27, v5
	s_cselect_b32 s25, -1, 0
	v_add_lshl_u32 v15, v9, v0, 3
	v_lshlrev_b32_e32 v25, 3, v0
	v_lshlrev_b64 v[9:10], 3, v[5:6]
	s_and_b32 s27, s29, s1
	v_lshl_add_u32 v26, v14, 8, 0x2000
	v_add_nc_u32_e32 v16, 0x2000, v15
	s_waitcnt lgkmcnt(0)
	v_mul_lo_u32 v11, v6, s10
	v_mul_lo_u32 v12, v5, s11
	v_mad_u64_u32 v[7:8], null, v5, s10, 0
	v_mul_lo_u32 v13, v6, s22
	v_mul_lo_u32 v19, v5, s23
	v_add_co_u32 v17, vcc_lo, s8, v9
	v_add_co_ci_u32_e32 v18, vcc_lo, s9, v10, vcc_lo
	v_add3_u32 v8, v8, v12, v11
	v_mad_u64_u32 v[11:12], null, v5, s22, 0
	s_cmp_lg_u32 s4, 1
	s_mul_i32 s24, s14, s3
	s_delay_alu instid0(VALU_DEP_2) | instskip(SKIP_2) | instid1(VALU_DEP_2)
	v_lshlrev_b64 v[5:6], 3, v[7:8]
	s_mov_b32 s26, 0
	s_mul_i32 s4, s3, s3
	v_add3_u32 v12, v12, v19, v13
	s_delay_alu instid0(VALU_DEP_2) | instskip(NEXT) | instid1(VALU_DEP_3)
	v_add_co_u32 v19, vcc_lo, s8, v5
	v_add_co_ci_u32_e32 v20, vcc_lo, s9, v6, vcc_lo
	s_delay_alu instid0(VALU_DEP_3) | instskip(SKIP_2) | instid1(VALU_DEP_3)
	v_lshlrev_b64 v[5:6], 3, v[11:12]
	v_add_co_u32 v21, vcc_lo, s20, v9
	v_add_co_ci_u32_e32 v22, vcc_lo, s21, v10, vcc_lo
	v_add_co_u32 v23, vcc_lo, s20, v5
	v_cmp_lt_i64_e64 s20, s[6:7], s[12:13]
	v_add_co_ci_u32_e32 v24, vcc_lo, s21, v6, vcc_lo
	s_cselect_b32 s21, -1, 0
	s_branch .LBB4_12
.LBB4_11:                               ;   in Loop: Header=BB4_12 Depth=1
	s_or_b32 exec_lo, exec_lo, s2
	s_add_i32 s26, s26, 32
	s_delay_alu instid0(SALU_CYCLE_1)
	s_cmp_lt_i32 s26, s3
	s_cbranch_scc0 .LBB4_52
.LBB4_12:                               ; =>This Loop Header: Depth=1
                                        ;     Child Loop BB4_15 Depth 2
                                        ;       Child Loop BB4_17 Depth 3
	v_add_nc_u32_e32 v27, s26, v0
	v_mov_b32_e32 v7, 0
	v_mov_b32_e32 v8, 0
	s_and_not1_b32 vcc_lo, exec_lo, s20
	s_delay_alu instid0(VALU_DEP_3)
	v_cmp_gt_i32_e64 s2, s3, v27
	s_cbranch_vccnz .LBB4_41
; %bb.13:                               ;   in Loop: Header=BB4_12 Depth=1
	v_mul_lo_u32 v28, v27, s3
	v_mov_b32_e32 v7, 0
	v_mov_b32_e32 v8, 0
	s_mov_b64 s[8:9], s[6:7]
	s_branch .LBB4_15
.LBB4_14:                               ;   in Loop: Header=BB4_15 Depth=2
	s_add_u32 s8, s8, 1
	s_addc_u32 s9, s9, 0
	s_delay_alu instid0(SALU_CYCLE_1) | instskip(NEXT) | instid1(VALU_DEP_1)
	v_cmp_ge_i64_e64 s14, s[8:9], s[12:13]
	s_and_b32 vcc_lo, exec_lo, s14
	s_cbranch_vccnz .LBB4_41
.LBB4_15:                               ;   Parent Loop BB4_12 Depth=1
                                        ; =>  This Loop Header: Depth=2
                                        ;       Child Loop BB4_17 Depth 3
	s_lshl_b64 s[14:15], s[8:9], 2
	s_mul_hi_u32 s29, s8, s4
	s_add_u32 s14, s16, s14
	s_addc_u32 s15, s17, s15
	s_mov_b32 s31, 0
	s_load_b32 s14, s[14:15], 0x0
	s_mul_i32 s15, s9, s4
	s_delay_alu instid0(SALU_CYCLE_1)
	s_add_i32 s15, s29, s15
	s_waitcnt lgkmcnt(0)
	s_sub_i32 s29, s14, s5
	s_mul_i32 s14, s8, s4
	v_mad_u64_u32 v[5:6], null, s29, s3, v[0:1]
	s_lshl_b64 s[14:15], s[14:15], 3
	s_delay_alu instid0(SALU_CYCLE_1)
	s_add_u32 s29, s18, s14
	s_addc_u32 s30, s19, s15
	s_branch .LBB4_17
.LBB4_16:                               ;   in Loop: Header=BB4_17 Depth=3
	s_or_b32 exec_lo, exec_lo, s14
	s_waitcnt vmcnt(0)
	ds_store_b64 v15, v[12:13]
	s_waitcnt lgkmcnt(0)
	s_waitcnt_vscnt null, 0x0
	s_barrier
	buffer_gl0_inv
	ds_load_2addr_b64 v[9:12], v25 offset1:32
	ds_load_b128 v[29:32], v26
	ds_load_b128 v[33:36], v26 offset:16
	s_add_i32 s31, s31, 32
	s_delay_alu instid0(SALU_CYCLE_1) | instskip(SKIP_2) | instid1(VALU_DEP_1)
	s_cmp_ge_i32 s31, s3
	s_waitcnt lgkmcnt(1)
	v_fma_f64 v[6:7], v[9:10], v[29:30], v[7:8]
	v_fma_f64 v[10:11], v[11:12], v[31:32], v[6:7]
	ds_load_2addr_b64 v[6:9], v25 offset0:64 offset1:96
	s_waitcnt lgkmcnt(0)
	v_fma_f64 v[6:7], v[6:7], v[33:34], v[10:11]
	s_delay_alu instid0(VALU_DEP_1)
	v_fma_f64 v[33:34], v[8:9], v[35:36], v[6:7]
	ds_load_2addr_b64 v[6:9], v25 offset0:128 offset1:160
	ds_load_b128 v[10:13], v26 offset:32
	ds_load_b128 v[29:32], v26 offset:48
	v_add_nc_u32_e32 v35, 0x800, v25
	s_waitcnt lgkmcnt(1)
	v_fma_f64 v[6:7], v[6:7], v[10:11], v[33:34]
	s_delay_alu instid0(VALU_DEP_1) | instskip(SKIP_3) | instid1(VALU_DEP_1)
	v_fma_f64 v[10:11], v[8:9], v[12:13], v[6:7]
	ds_load_2addr_b64 v[6:9], v25 offset0:192 offset1:224
	s_waitcnt lgkmcnt(0)
	v_fma_f64 v[6:7], v[6:7], v[29:30], v[10:11]
	v_fma_f64 v[33:34], v[8:9], v[31:32], v[6:7]
	ds_load_2addr_b64 v[6:9], v35 offset1:32
	ds_load_b128 v[10:13], v26 offset:64
	ds_load_b128 v[29:32], v26 offset:80
	s_waitcnt lgkmcnt(1)
	v_fma_f64 v[6:7], v[6:7], v[10:11], v[33:34]
	s_delay_alu instid0(VALU_DEP_1) | instskip(SKIP_3) | instid1(VALU_DEP_1)
	v_fma_f64 v[10:11], v[8:9], v[12:13], v[6:7]
	ds_load_2addr_b64 v[6:9], v35 offset0:64 offset1:96
	s_waitcnt lgkmcnt(0)
	v_fma_f64 v[6:7], v[6:7], v[29:30], v[10:11]
	v_fma_f64 v[33:34], v[8:9], v[31:32], v[6:7]
	ds_load_2addr_b64 v[6:9], v35 offset0:128 offset1:160
	ds_load_b128 v[10:13], v26 offset:96
	ds_load_b128 v[29:32], v26 offset:112
	s_waitcnt lgkmcnt(1)
	v_fma_f64 v[6:7], v[6:7], v[10:11], v[33:34]
	s_delay_alu instid0(VALU_DEP_1) | instskip(SKIP_4) | instid1(VALU_DEP_1)
	v_fma_f64 v[10:11], v[8:9], v[12:13], v[6:7]
	ds_load_2addr_b64 v[6:9], v35 offset0:192 offset1:224
	v_add_nc_u32_e32 v35, 0x1000, v25
	s_waitcnt lgkmcnt(0)
	v_fma_f64 v[6:7], v[6:7], v[29:30], v[10:11]
	v_fma_f64 v[33:34], v[8:9], v[31:32], v[6:7]
	ds_load_2addr_b64 v[6:9], v35 offset1:32
	ds_load_b128 v[10:13], v26 offset:128
	ds_load_b128 v[29:32], v26 offset:144
	s_waitcnt lgkmcnt(1)
	v_fma_f64 v[6:7], v[6:7], v[10:11], v[33:34]
	s_delay_alu instid0(VALU_DEP_1) | instskip(SKIP_3) | instid1(VALU_DEP_1)
	v_fma_f64 v[10:11], v[8:9], v[12:13], v[6:7]
	ds_load_2addr_b64 v[6:9], v35 offset0:64 offset1:96
	s_waitcnt lgkmcnt(0)
	v_fma_f64 v[6:7], v[6:7], v[29:30], v[10:11]
	v_fma_f64 v[33:34], v[8:9], v[31:32], v[6:7]
	ds_load_2addr_b64 v[6:9], v35 offset0:128 offset1:160
	ds_load_b128 v[10:13], v26 offset:160
	ds_load_b128 v[29:32], v26 offset:176
	s_waitcnt lgkmcnt(1)
	v_fma_f64 v[6:7], v[6:7], v[10:11], v[33:34]
	s_delay_alu instid0(VALU_DEP_1) | instskip(SKIP_4) | instid1(VALU_DEP_1)
	v_fma_f64 v[10:11], v[8:9], v[12:13], v[6:7]
	ds_load_2addr_b64 v[6:9], v35 offset0:192 offset1:224
	v_add_nc_u32_e32 v35, 0x1800, v25
	s_waitcnt lgkmcnt(0)
	v_fma_f64 v[6:7], v[6:7], v[29:30], v[10:11]
	v_fma_f64 v[33:34], v[8:9], v[31:32], v[6:7]
	ds_load_2addr_b64 v[6:9], v35 offset1:32
	ds_load_b128 v[10:13], v26 offset:192
	ds_load_b128 v[29:32], v26 offset:208
	s_waitcnt lgkmcnt(1)
	v_fma_f64 v[6:7], v[6:7], v[10:11], v[33:34]
	s_delay_alu instid0(VALU_DEP_1) | instskip(SKIP_3) | instid1(VALU_DEP_1)
	v_fma_f64 v[10:11], v[8:9], v[12:13], v[6:7]
	ds_load_2addr_b64 v[6:9], v35 offset0:64 offset1:96
	s_waitcnt lgkmcnt(0)
	v_fma_f64 v[6:7], v[6:7], v[29:30], v[10:11]
	v_fma_f64 v[33:34], v[8:9], v[31:32], v[6:7]
	ds_load_2addr_b64 v[6:9], v35 offset0:128 offset1:160
	ds_load_b128 v[10:13], v26 offset:224
	ds_load_b128 v[29:32], v26 offset:240
	s_waitcnt lgkmcnt(1)
	v_fma_f64 v[6:7], v[6:7], v[10:11], v[33:34]
	s_delay_alu instid0(VALU_DEP_1)
	v_fma_f64 v[10:11], v[8:9], v[12:13], v[6:7]
	ds_load_2addr_b64 v[6:9], v35 offset0:192 offset1:224
	s_waitcnt lgkmcnt(0)
	s_barrier
	buffer_gl0_inv
	v_fma_f64 v[6:7], v[6:7], v[29:30], v[10:11]
	s_delay_alu instid0(VALU_DEP_1)
	v_fma_f64 v[7:8], v[8:9], v[31:32], v[6:7]
	s_cbranch_scc1 .LBB4_14
.LBB4_17:                               ;   Parent Loop BB4_12 Depth=1
                                        ;     Parent Loop BB4_15 Depth=2
                                        ; =>    This Inner Loop Header: Depth=3
	s_and_b32 vcc_lo, exec_lo, s28
	s_cbranch_vccz .LBB4_23
; %bb.18:                               ;   in Loop: Header=BB4_17 Depth=3
	s_mov_b32 s34, 0
	s_mov_b32 s33, 0
                                        ; implicit-def: $vgpr9_vgpr10
	s_and_saveexec_b32 s14, s1
	s_cbranch_execz .LBB4_22
; %bb.19:                               ;   in Loop: Header=BB4_17 Depth=3
	v_add_nc_u32_e32 v6, s31, v0
	s_mov_b32 s15, 0
	s_mov_b32 s33, exec_lo
                                        ; implicit-def: $vgpr9_vgpr10
	s_delay_alu instid0(VALU_DEP_1)
	v_cmpx_gt_i32_e64 s3, v6
	s_xor_b32 s33, exec_lo, s33
; %bb.20:                               ;   in Loop: Header=BB4_17 Depth=3
	v_add_nc_u32_e32 v6, s31, v5
	s_mov_b32 s15, exec_lo
	s_delay_alu instid0(VALU_DEP_1) | instskip(SKIP_2) | instid1(VALU_DEP_3)
	v_ashrrev_i32_e32 v11, 31, v6
	v_mul_lo_u32 v12, v6, s11
	v_mad_u64_u32 v[9:10], null, v6, s10, 0
	v_mul_lo_u32 v6, v11, s10
	s_delay_alu instid0(VALU_DEP_1) | instskip(NEXT) | instid1(VALU_DEP_1)
	v_add3_u32 v10, v10, v12, v6
	v_lshlrev_b64 v[9:10], 3, v[9:10]
	s_delay_alu instid0(VALU_DEP_1) | instskip(NEXT) | instid1(VALU_DEP_2)
	v_add_co_u32 v9, vcc_lo, v17, v9
	v_add_co_ci_u32_e32 v10, vcc_lo, v18, v10, vcc_lo
; %bb.21:                               ;   in Loop: Header=BB4_17 Depth=3
	s_or_b32 exec_lo, exec_lo, s33
	s_delay_alu instid0(SALU_CYCLE_1)
	s_and_b32 s33, s15, exec_lo
.LBB4_22:                               ;   in Loop: Header=BB4_17 Depth=3
	s_or_b32 exec_lo, exec_lo, s14
	s_mov_b64 s[14:15], 0
	s_and_b32 vcc_lo, exec_lo, s34
	s_cbranch_vccnz .LBB4_24
	s_branch .LBB4_29
.LBB4_23:                               ;   in Loop: Header=BB4_17 Depth=3
	s_mov_b32 s33, 0
                                        ; implicit-def: $vgpr9_vgpr10
                                        ; implicit-def: $sgpr14_sgpr15
	s_cbranch_execz .LBB4_29
.LBB4_24:                               ;   in Loop: Header=BB4_17 Depth=3
                                        ; implicit-def: $vgpr9_vgpr10
	s_and_saveexec_b32 s14, s1
	s_cbranch_execz .LBB4_28
; %bb.25:                               ;   in Loop: Header=BB4_17 Depth=3
	v_add_nc_u32_e32 v6, s31, v0
	s_mov_b32 s34, s33
	s_mov_b32 s15, exec_lo
                                        ; implicit-def: $vgpr9_vgpr10
	s_delay_alu instid0(VALU_DEP_1)
	v_cmpx_gt_i32_e64 s3, v6
; %bb.26:                               ;   in Loop: Header=BB4_17 Depth=3
	v_add_nc_u32_e32 v9, s31, v5
	s_or_b32 s34, s33, exec_lo
	s_delay_alu instid0(VALU_DEP_1) | instskip(NEXT) | instid1(VALU_DEP_1)
	v_ashrrev_i32_e32 v10, 31, v9
	v_lshlrev_b64 v[9:10], 3, v[9:10]
	s_delay_alu instid0(VALU_DEP_1) | instskip(NEXT) | instid1(VALU_DEP_2)
	v_add_co_u32 v9, vcc_lo, v19, v9
	v_add_co_ci_u32_e32 v10, vcc_lo, v20, v10, vcc_lo
; %bb.27:                               ;   in Loop: Header=BB4_17 Depth=3
	s_or_b32 exec_lo, exec_lo, s15
	s_delay_alu instid0(SALU_CYCLE_1) | instskip(SKIP_1) | instid1(SALU_CYCLE_1)
	s_and_not1_b32 s15, s33, exec_lo
	s_and_b32 s33, s34, exec_lo
	s_or_b32 s33, s15, s33
.LBB4_28:                               ;   in Loop: Header=BB4_17 Depth=3
	s_or_b32 exec_lo, exec_lo, s14
	s_mov_b64 s[14:15], 0
.LBB4_29:                               ;   in Loop: Header=BB4_17 Depth=3
	s_delay_alu instid0(SALU_CYCLE_1)
	v_dual_mov_b32 v11, s14 :: v_dual_mov_b32 v12, s15
	s_and_saveexec_b32 s14, s33
	s_cbranch_execnz .LBB4_39
; %bb.30:                               ;   in Loop: Header=BB4_17 Depth=3
	s_or_b32 exec_lo, exec_lo, s14
	s_delay_alu instid0(SALU_CYCLE_1)
	s_and_b32 vcc_lo, exec_lo, s25
	ds_store_b64 v16, v[11:12]
	s_cbranch_vccz .LBB4_40
.LBB4_31:                               ;   in Loop: Header=BB4_17 Depth=3
	s_mov_b32 s33, 0
	s_mov_b32 s34, 0
                                        ; implicit-def: $vgpr9
	s_and_saveexec_b32 s14, s2
	s_cbranch_execz .LBB4_35
; %bb.32:                               ;   in Loop: Header=BB4_17 Depth=3
	v_add_nc_u32_e32 v6, s31, v14
	s_mov_b32 s15, 0
	s_mov_b32 s34, exec_lo
                                        ; implicit-def: $vgpr9
	s_delay_alu instid0(VALU_DEP_1)
	v_cmpx_gt_i32_e64 s3, v6
	s_xor_b32 s34, exec_lo, s34
; %bb.33:                               ;   in Loop: Header=BB4_17 Depth=3
	s_mov_b32 s15, exec_lo
	v_mul_lo_u32 v9, v6, s3
; %bb.34:                               ;   in Loop: Header=BB4_17 Depth=3
	s_or_b32 exec_lo, exec_lo, s34
	s_delay_alu instid0(SALU_CYCLE_1)
	s_and_b32 s34, s15, exec_lo
.LBB4_35:                               ;   in Loop: Header=BB4_17 Depth=3
	s_or_b32 exec_lo, exec_lo, s14
	v_mov_b32_e32 v11, v27
	s_mov_b64 s[14:15], 0
	s_and_b32 vcc_lo, exec_lo, s33
	s_cbranch_vccz .LBB4_37
.LBB4_36:                               ;   in Loop: Header=BB4_17 Depth=3
	v_add_nc_u32_e32 v9, s31, v14
	v_mov_b32_e32 v11, v28
	s_and_not1_b32 s33, s34, exec_lo
	s_delay_alu instid0(VALU_DEP_2) | instskip(SKIP_1) | instid1(SALU_CYCLE_1)
	v_cmp_gt_i32_e32 vcc_lo, s3, v9
	s_and_b32 s14, s2, vcc_lo
	s_and_b32 s34, s14, exec_lo
	s_mov_b64 s[14:15], 0
	s_or_b32 s34, s33, s34
.LBB4_37:                               ;   in Loop: Header=BB4_17 Depth=3
	v_dual_mov_b32 v12, s14 :: v_dual_mov_b32 v13, s15
	s_and_saveexec_b32 s14, s34
	s_cbranch_execz .LBB4_16
; %bb.38:                               ;   in Loop: Header=BB4_17 Depth=3
	v_ashrrev_i32_e32 v12, 31, v11
	v_ashrrev_i32_e32 v10, 31, v9
	s_delay_alu instid0(VALU_DEP_2) | instskip(NEXT) | instid1(VALU_DEP_2)
	v_lshlrev_b64 v[11:12], 3, v[11:12]
	v_lshlrev_b64 v[9:10], 3, v[9:10]
	s_delay_alu instid0(VALU_DEP_2) | instskip(NEXT) | instid1(VALU_DEP_3)
	v_add_co_u32 v6, vcc_lo, s29, v11
	v_add_co_ci_u32_e32 v11, vcc_lo, s30, v12, vcc_lo
	s_delay_alu instid0(VALU_DEP_2) | instskip(NEXT) | instid1(VALU_DEP_2)
	v_add_co_u32 v9, vcc_lo, v6, v9
	v_add_co_ci_u32_e32 v10, vcc_lo, v11, v10, vcc_lo
	global_load_b64 v[12:13], v[9:10], off
	s_branch .LBB4_16
.LBB4_39:                               ;   in Loop: Header=BB4_17 Depth=3
	global_load_b64 v[11:12], v[9:10], off
	s_or_b32 exec_lo, exec_lo, s14
	s_delay_alu instid0(SALU_CYCLE_1)
	s_and_b32 vcc_lo, exec_lo, s25
	s_waitcnt vmcnt(0)
	ds_store_b64 v16, v[11:12]
	s_cbranch_vccnz .LBB4_31
.LBB4_40:                               ;   in Loop: Header=BB4_17 Depth=3
	s_mov_b32 s34, 0
                                        ; implicit-def: $vgpr11
                                        ; implicit-def: $vgpr9
                                        ; implicit-def: $sgpr14_sgpr15
	s_cbranch_execnz .LBB4_36
	s_branch .LBB4_37
.LBB4_41:                               ;   in Loop: Header=BB4_12 Depth=1
	v_cmp_gt_i32_e32 vcc_lo, s3, v27
	s_and_b32 s8, s27, vcc_lo
	s_delay_alu instid0(SALU_CYCLE_1)
	s_and_saveexec_b32 s2, s8
	s_cbranch_execz .LBB4_11
; %bb.42:                               ;   in Loop: Header=BB4_12 Depth=1
	v_add_nc_u32_e32 v5, s24, v27
	s_delay_alu instid0(VALU_DEP_1) | instskip(SKIP_1) | instid1(SALU_CYCLE_1)
	v_ashrrev_i32_e32 v6, 31, v5
	s_and_saveexec_b32 s8, s0
	s_xor_b32 s8, exec_lo, s8
	s_cbranch_execz .LBB4_47
; %bb.43:                               ;   in Loop: Header=BB4_12 Depth=1
	s_and_b32 vcc_lo, exec_lo, s21
	s_mov_b32 s9, -1
	s_cbranch_vccz .LBB4_45
; %bb.44:                               ;   in Loop: Header=BB4_12 Depth=1
	v_mul_lo_u32 v11, v6, s22
	v_mul_lo_u32 v12, v5, s23
	v_mad_u64_u32 v[9:10], null, v5, s22, 0
	v_mul_f64 v[27:28], v[1:2], v[7:8]
	s_mov_b32 s9, 0
	s_delay_alu instid0(VALU_DEP_2) | instskip(NEXT) | instid1(VALU_DEP_1)
	v_add3_u32 v10, v10, v12, v11
	v_lshlrev_b64 v[9:10], 3, v[9:10]
	s_delay_alu instid0(VALU_DEP_1) | instskip(NEXT) | instid1(VALU_DEP_2)
	v_add_co_u32 v9, vcc_lo, v21, v9
	v_add_co_ci_u32_e32 v10, vcc_lo, v22, v10, vcc_lo
	global_load_b64 v[11:12], v[9:10], off
	s_waitcnt vmcnt(0)
	v_fma_f64 v[11:12], v[3:4], v[11:12], v[27:28]
	global_store_b64 v[9:10], v[11:12], off
.LBB4_45:                               ;   in Loop: Header=BB4_12 Depth=1
	s_and_not1_b32 vcc_lo, exec_lo, s9
	s_cbranch_vccnz .LBB4_47
; %bb.46:                               ;   in Loop: Header=BB4_12 Depth=1
	v_lshlrev_b64 v[5:6], 3, v[5:6]
	v_mul_f64 v[7:8], v[1:2], v[7:8]
	s_delay_alu instid0(VALU_DEP_2) | instskip(NEXT) | instid1(VALU_DEP_3)
	v_add_co_u32 v5, vcc_lo, v23, v5
	v_add_co_ci_u32_e32 v6, vcc_lo, v24, v6, vcc_lo
	global_load_b64 v[9:10], v[5:6], off
	s_waitcnt vmcnt(0)
	v_fma_f64 v[7:8], v[3:4], v[9:10], v[7:8]
	global_store_b64 v[5:6], v[7:8], off
                                        ; implicit-def: $vgpr7_vgpr8
                                        ; implicit-def: $vgpr5
.LBB4_47:                               ;   in Loop: Header=BB4_12 Depth=1
	s_and_not1_saveexec_b32 s8, s8
	s_cbranch_execz .LBB4_11
; %bb.48:                               ;   in Loop: Header=BB4_12 Depth=1
	v_mul_f64 v[7:8], v[1:2], v[7:8]
	s_and_b32 vcc_lo, exec_lo, s21
	s_mov_b32 s8, -1
	s_cbranch_vccz .LBB4_50
; %bb.49:                               ;   in Loop: Header=BB4_12 Depth=1
	v_mul_lo_u32 v11, v6, s22
	v_mul_lo_u32 v12, v5, s23
	v_mad_u64_u32 v[9:10], null, v5, s22, 0
	s_mov_b32 s8, 0
	s_delay_alu instid0(VALU_DEP_1) | instskip(NEXT) | instid1(VALU_DEP_1)
	v_add3_u32 v10, v10, v12, v11
	v_lshlrev_b64 v[9:10], 3, v[9:10]
	s_delay_alu instid0(VALU_DEP_1) | instskip(NEXT) | instid1(VALU_DEP_2)
	v_add_co_u32 v9, vcc_lo, v21, v9
	v_add_co_ci_u32_e32 v10, vcc_lo, v22, v10, vcc_lo
	global_store_b64 v[9:10], v[7:8], off
.LBB4_50:                               ;   in Loop: Header=BB4_12 Depth=1
	s_and_not1_b32 vcc_lo, exec_lo, s8
	s_cbranch_vccnz .LBB4_11
; %bb.51:                               ;   in Loop: Header=BB4_12 Depth=1
	v_lshlrev_b64 v[5:6], 3, v[5:6]
	s_delay_alu instid0(VALU_DEP_1) | instskip(NEXT) | instid1(VALU_DEP_2)
	v_add_co_u32 v5, vcc_lo, v23, v5
	v_add_co_ci_u32_e32 v6, vcc_lo, v24, v6, vcc_lo
	global_store_b64 v[5:6], v[7:8], off
	s_branch .LBB4_11
.LBB4_52:
	s_nop 0
	s_sendmsg sendmsg(MSG_DEALLOC_VGPRS)
	s_endpgm
	.section	.rodata,"a",@progbits
	.p2align	6, 0x0
	.amdhsa_kernel _ZN9rocsparseL29bsrmm_general_blockdim_kernelILj32ELj32EliddddEEvb20rocsparse_direction_T2_S2_llNS_24const_host_device_scalarIT6_EEPKT1_PKS2_PKT3_S2_PKT4_llS5_PT5_ll16rocsparse_order_21rocsparse_index_base_b
		.amdhsa_group_segment_fixed_size 16384
		.amdhsa_private_segment_fixed_size 0
		.amdhsa_kernarg_size 140
		.amdhsa_user_sgpr_count 14
		.amdhsa_user_sgpr_dispatch_ptr 0
		.amdhsa_user_sgpr_queue_ptr 0
		.amdhsa_user_sgpr_kernarg_segment_ptr 1
		.amdhsa_user_sgpr_dispatch_id 0
		.amdhsa_user_sgpr_private_segment_size 0
		.amdhsa_wavefront_size32 1
		.amdhsa_uses_dynamic_stack 0
		.amdhsa_enable_private_segment 0
		.amdhsa_system_sgpr_workgroup_id_x 1
		.amdhsa_system_sgpr_workgroup_id_y 1
		.amdhsa_system_sgpr_workgroup_id_z 0
		.amdhsa_system_sgpr_workgroup_info 0
		.amdhsa_system_vgpr_workitem_id 1
		.amdhsa_next_free_vgpr 37
		.amdhsa_next_free_sgpr 35
		.amdhsa_reserve_vcc 1
		.amdhsa_float_round_mode_32 0
		.amdhsa_float_round_mode_16_64 0
		.amdhsa_float_denorm_mode_32 3
		.amdhsa_float_denorm_mode_16_64 3
		.amdhsa_dx10_clamp 1
		.amdhsa_ieee_mode 1
		.amdhsa_fp16_overflow 0
		.amdhsa_workgroup_processor_mode 1
		.amdhsa_memory_ordered 1
		.amdhsa_forward_progress 0
		.amdhsa_shared_vgpr_count 0
		.amdhsa_exception_fp_ieee_invalid_op 0
		.amdhsa_exception_fp_denorm_src 0
		.amdhsa_exception_fp_ieee_div_zero 0
		.amdhsa_exception_fp_ieee_overflow 0
		.amdhsa_exception_fp_ieee_underflow 0
		.amdhsa_exception_fp_ieee_inexact 0
		.amdhsa_exception_int_div_zero 0
	.end_amdhsa_kernel
	.section	.text._ZN9rocsparseL29bsrmm_general_blockdim_kernelILj32ELj32EliddddEEvb20rocsparse_direction_T2_S2_llNS_24const_host_device_scalarIT6_EEPKT1_PKS2_PKT3_S2_PKT4_llS5_PT5_ll16rocsparse_order_21rocsparse_index_base_b,"axG",@progbits,_ZN9rocsparseL29bsrmm_general_blockdim_kernelILj32ELj32EliddddEEvb20rocsparse_direction_T2_S2_llNS_24const_host_device_scalarIT6_EEPKT1_PKS2_PKT3_S2_PKT4_llS5_PT5_ll16rocsparse_order_21rocsparse_index_base_b,comdat
.Lfunc_end4:
	.size	_ZN9rocsparseL29bsrmm_general_blockdim_kernelILj32ELj32EliddddEEvb20rocsparse_direction_T2_S2_llNS_24const_host_device_scalarIT6_EEPKT1_PKS2_PKT3_S2_PKT4_llS5_PT5_ll16rocsparse_order_21rocsparse_index_base_b, .Lfunc_end4-_ZN9rocsparseL29bsrmm_general_blockdim_kernelILj32ELj32EliddddEEvb20rocsparse_direction_T2_S2_llNS_24const_host_device_scalarIT6_EEPKT1_PKS2_PKT3_S2_PKT4_llS5_PT5_ll16rocsparse_order_21rocsparse_index_base_b
                                        ; -- End function
	.section	.AMDGPU.csdata,"",@progbits
; Kernel info:
; codeLenInByte = 2492
; NumSgprs: 37
; NumVgprs: 37
; ScratchSize: 0
; MemoryBound: 0
; FloatMode: 240
; IeeeMode: 1
; LDSByteSize: 16384 bytes/workgroup (compile time only)
; SGPRBlocks: 4
; VGPRBlocks: 4
; NumSGPRsForWavesPerEU: 37
; NumVGPRsForWavesPerEU: 37
; Occupancy: 16
; WaveLimiterHint : 1
; COMPUTE_PGM_RSRC2:SCRATCH_EN: 0
; COMPUTE_PGM_RSRC2:USER_SGPR: 14
; COMPUTE_PGM_RSRC2:TRAP_HANDLER: 0
; COMPUTE_PGM_RSRC2:TGID_X_EN: 1
; COMPUTE_PGM_RSRC2:TGID_Y_EN: 1
; COMPUTE_PGM_RSRC2:TGID_Z_EN: 0
; COMPUTE_PGM_RSRC2:TIDIG_COMP_CNT: 1
	.section	.text._ZN9rocsparseL29bsrmm_general_blockdim_kernelILj32ELj32EllddddEEvb20rocsparse_direction_T2_S2_llNS_24const_host_device_scalarIT6_EEPKT1_PKS2_PKT3_S2_PKT4_llS5_PT5_ll16rocsparse_order_21rocsparse_index_base_b,"axG",@progbits,_ZN9rocsparseL29bsrmm_general_blockdim_kernelILj32ELj32EllddddEEvb20rocsparse_direction_T2_S2_llNS_24const_host_device_scalarIT6_EEPKT1_PKS2_PKT3_S2_PKT4_llS5_PT5_ll16rocsparse_order_21rocsparse_index_base_b,comdat
	.globl	_ZN9rocsparseL29bsrmm_general_blockdim_kernelILj32ELj32EllddddEEvb20rocsparse_direction_T2_S2_llNS_24const_host_device_scalarIT6_EEPKT1_PKS2_PKT3_S2_PKT4_llS5_PT5_ll16rocsparse_order_21rocsparse_index_base_b ; -- Begin function _ZN9rocsparseL29bsrmm_general_blockdim_kernelILj32ELj32EllddddEEvb20rocsparse_direction_T2_S2_llNS_24const_host_device_scalarIT6_EEPKT1_PKS2_PKT3_S2_PKT4_llS5_PT5_ll16rocsparse_order_21rocsparse_index_base_b
	.p2align	8
	.type	_ZN9rocsparseL29bsrmm_general_blockdim_kernelILj32ELj32EllddddEEvb20rocsparse_direction_T2_S2_llNS_24const_host_device_scalarIT6_EEPKT1_PKS2_PKT3_S2_PKT4_llS5_PT5_ll16rocsparse_order_21rocsparse_index_base_b,@function
_ZN9rocsparseL29bsrmm_general_blockdim_kernelILj32ELj32EllddddEEvb20rocsparse_direction_T2_S2_llNS_24const_host_device_scalarIT6_EEPKT1_PKS2_PKT3_S2_PKT4_llS5_PT5_ll16rocsparse_order_21rocsparse_index_base_b: ; @_ZN9rocsparseL29bsrmm_general_blockdim_kernelILj32ELj32EllddddEEvb20rocsparse_direction_T2_S2_llNS_24const_host_device_scalarIT6_EEPKT1_PKS2_PKT3_S2_PKT4_llS5_PT5_ll16rocsparse_order_21rocsparse_index_base_b
; %bb.0:
	s_clause 0x2
	s_load_b128 s[20:23], s[0:1], 0x88
	s_load_b64 s[6:7], s[0:1], 0x28
	s_load_b64 s[4:5], s[0:1], 0x68
	s_mov_b32 s2, s15
	s_waitcnt lgkmcnt(0)
	s_bitcmp1_b32 s22, 0
	v_dual_mov_b32 v1, s6 :: v_dual_mov_b32 v2, s7
	s_cselect_b32 s3, -1, 0
	s_delay_alu instid0(SALU_CYCLE_1)
	s_and_b32 vcc_lo, exec_lo, s3
	s_xor_b32 s3, s3, -1
	s_cbranch_vccnz .LBB5_2
; %bb.1:
	v_dual_mov_b32 v1, s6 :: v_dual_mov_b32 v2, s7
	flat_load_b64 v[1:2], v[1:2]
.LBB5_2:
	v_dual_mov_b32 v3, s4 :: v_dual_mov_b32 v4, s5
	s_and_not1_b32 vcc_lo, exec_lo, s3
	s_cbranch_vccnz .LBB5_4
; %bb.3:
	v_dual_mov_b32 v3, s4 :: v_dual_mov_b32 v4, s5
	flat_load_b64 v[3:4], v[3:4]
.LBB5_4:
	s_waitcnt vmcnt(0) lgkmcnt(0)
	v_cmp_neq_f64_e32 vcc_lo, 0, v[1:2]
	v_cmp_neq_f64_e64 s3, 1.0, v[3:4]
	s_mov_b64 s[12:13], 0
	s_delay_alu instid0(VALU_DEP_1) | instskip(NEXT) | instid1(SALU_CYCLE_1)
	s_or_b32 s3, vcc_lo, s3
	s_and_saveexec_b32 s4, s3
	s_cbranch_execz .LBB5_52
; %bb.5:
	s_clause 0x1
	s_load_b128 s[24:27], s[0:1], 0x8
	s_load_b64 s[4:5], s[0:1], 0x30
	s_ashr_i32 s15, s14, 31
	s_waitcnt lgkmcnt(0)
	v_cmp_ge_i64_e64 s3, s[14:15], s[24:25]
	v_cmp_lt_i64_e64 s28, s[14:15], s[24:25]
	s_delay_alu instid0(VALU_DEP_2)
	s_and_b32 vcc_lo, exec_lo, s3
	s_cbranch_vccz .LBB5_8
; %bb.6:
	s_delay_alu instid0(VALU_DEP_1)
	s_and_not1_b32 vcc_lo, exec_lo, s28
	s_mov_b64 s[22:23], 0
	s_cbranch_vccz .LBB5_9
.LBB5_7:
	s_load_b64 s[24:25], s[0:1], 0x48
	s_waitcnt lgkmcnt(0)
	v_cmp_lt_i64_e64 s3, s[24:25], 1
	s_delay_alu instid0(VALU_DEP_1)
	s_and_b32 vcc_lo, exec_lo, s3
	s_cbranch_vccz .LBB5_10
	s_branch .LBB5_52
.LBB5_8:
	s_lshl_b64 s[6:7], s[14:15], 3
	s_delay_alu instid0(SALU_CYCLE_1)
	s_add_u32 s6, s4, s6
	s_addc_u32 s7, s5, s7
	s_load_b64 s[6:7], s[6:7], 0x0
	s_waitcnt lgkmcnt(0)
	s_sub_u32 s12, s6, s21
	s_subb_u32 s13, s7, 0
	s_and_not1_b32 vcc_lo, exec_lo, s28
	s_mov_b64 s[22:23], 0
	s_cbranch_vccnz .LBB5_7
.LBB5_9:
	s_lshl_b64 s[6:7], s[14:15], 3
	s_delay_alu instid0(SALU_CYCLE_1)
	s_add_u32 s4, s4, s6
	s_addc_u32 s5, s5, s7
	s_load_b64 s[4:5], s[4:5], 0x8
	s_waitcnt lgkmcnt(0)
	s_sub_u32 s22, s4, s21
	s_subb_u32 s23, s5, 0
	s_load_b64 s[24:25], s[0:1], 0x48
	s_waitcnt lgkmcnt(0)
	v_cmp_lt_i64_e64 s3, s[24:25], 1
	s_delay_alu instid0(VALU_DEP_1)
	s_and_b32 vcc_lo, exec_lo, s3
	s_cbranch_vccnz .LBB5_52
.LBB5_10:
	s_clause 0x3
	s_load_b64 s[30:31], s[0:1], 0x0
	s_load_b128 s[4:7], s[0:1], 0x70
	s_load_b128 s[8:11], s[0:1], 0x38
	;; [unrolled: 1-line block ×3, first 2 shown]
	v_bfe_u32 v23, v0, 10, 10
	v_mov_b32_e32 v6, 0
	s_mul_i32 s0, s14, s25
	s_mul_hi_u32 s1, s14, s24
	s_mul_hi_u32 s15, s24, s24
	v_lshlrev_b32_e32 v11, 5, v23
	v_lshl_add_u32 v5, s2, 5, v23
	s_mul_i32 s2, s24, s25
	v_and_b32_e32 v0, 0x3ff, v0
	s_mov_b32 s37, s21
	v_cmp_lt_i64_e64 s41, s[12:13], s[22:23]
	v_lshlrev_b64 v[7:8], 3, v[5:6]
	v_lshl_add_u32 v33, v23, 8, 0x2000
	v_add_lshl_u32 v28, v11, v0, 3
	v_lshlrev_b32_e32 v30, 3, v0
	s_mul_i32 s3, s14, s24
	s_mul_i32 s14, s24, s24
	s_waitcnt lgkmcnt(0)
	s_bitcmp1_b32 s30, 0
	v_add_co_u32 v24, vcc_lo, s4, v7
	v_add_co_ci_u32_e32 v25, vcc_lo, s5, v8, vcc_lo
	v_mad_u64_u32 v[9:10], null, v5, s6, 0
	v_add_co_u32 v26, vcc_lo, s16, v7
	s_cselect_b32 s29, -1, 0
	s_add_i32 s33, s1, s0
	s_add_i32 s0, s15, s2
	v_add_co_ci_u32_e32 v27, vcc_lo, s17, v8, vcc_lo
	v_mad_u64_u32 v[7:8], null, s18, v5, 0
	s_add_i32 s15, s0, s2
	v_cmp_gt_i64_e64 s0, s[26:27], v[5:6]
	v_cmp_neq_f64_e64 s1, 0, v[3:4]
	s_xor_b32 s36, s29, -1
	v_mad_u64_u32 v[11:12], null, v5, s7, v[10:11]
	s_cmp_lg_u32 s31, 0
	s_delay_alu instid0(VALU_DEP_4)
	v_mad_u64_u32 v[12:13], null, s19, v5, v[8:9]
	s_cselect_b32 s38, -1, 0
	s_and_b32 s39, s28, s0
	s_cmp_lg_u32 s20, 1
	s_mul_i32 s2, s12, s25
	s_mul_hi_u32 s20, s12, s24
	s_cselect_b32 s40, -1, 0
	s_add_i32 s2, s20, s2
	s_mul_i32 s20, s13, s24
	v_dual_mov_b32 v10, v11 :: v_dual_add_nc_u32 v29, 0x2000, v28
	s_add_i32 s21, s2, s20
	s_mul_i32 s20, s12, s24
	v_dual_mov_b32 v8, v12 :: v_dual_lshlrev_b32 v5, 3, v23
	s_lshl_b64 s[20:21], s[20:21], 3
	v_lshlrev_b64 v[9:10], 3, v[9:10]
	v_add_co_u32 v13, s2, s20, v30
	s_delay_alu instid0(VALU_DEP_1) | instskip(SKIP_1) | instid1(VALU_DEP_3)
	v_add_co_ci_u32_e64 v11, null, s21, 0, s2
	v_lshlrev_b64 v[7:8], 3, v[7:8]
	v_mul_lo_u32 v15, s25, v13
	v_add_co_u32 v31, vcc_lo, s4, v9
	s_delay_alu instid0(VALU_DEP_4) | instskip(SKIP_4) | instid1(VALU_DEP_4)
	v_mul_lo_u32 v14, s24, v11
	v_mad_u64_u32 v[11:12], null, s24, v13, v[5:6]
	v_add_co_ci_u32_e32 v32, vcc_lo, s5, v10, vcc_lo
	v_add_co_u32 v5, vcc_lo, v7, v30
	v_add_co_ci_u32_e32 v6, vcc_lo, 0, v8, vcc_lo
	v_add3_u32 v8, v15, v12, v14
	s_delay_alu instid0(VALU_DEP_3) | instskip(NEXT) | instid1(VALU_DEP_3)
	v_add_co_u32 v5, vcc_lo, s16, v5
	v_add_co_ci_u32_e32 v6, vcc_lo, s17, v6, vcc_lo
	v_add_co_u32 v7, vcc_lo, s10, v11
	s_delay_alu instid0(VALU_DEP_4)
	v_add_co_ci_u32_e32 v8, vcc_lo, s11, v8, vcc_lo
	s_mov_b64 s[20:21], 0
	s_lshl_b64 s[4:5], s[24:25], 3
	s_lshl_b64 s[16:17], s[24:25], 8
	;; [unrolled: 1-line block ×3, first 2 shown]
	s_branch .LBB5_12
.LBB5_11:                               ;   in Loop: Header=BB5_12 Depth=1
	s_or_b32 exec_lo, exec_lo, s2
	s_add_u32 s20, s20, 32
	s_addc_u32 s21, s21, 0
	v_add_co_u32 v7, vcc_lo, v7, s16
	v_cmp_lt_i64_e64 s2, s[20:21], s[24:25]
	v_add_co_ci_u32_e32 v8, vcc_lo, s17, v8, vcc_lo
	s_delay_alu instid0(VALU_DEP_2)
	s_and_b32 vcc_lo, exec_lo, s2
	s_cbranch_vccz .LBB5_52
.LBB5_12:                               ; =>This Loop Header: Depth=1
                                        ;     Child Loop BB5_15 Depth 2
                                        ;       Child Loop BB5_17 Depth 3
	v_add_co_u32 v9, s2, s20, v0
	s_delay_alu instid0(VALU_DEP_1) | instskip(SKIP_3) | instid1(VALU_DEP_3)
	v_add_co_ci_u32_e64 v10, null, s21, 0, s2
	v_mov_b32_e32 v17, 0
	v_mov_b32_e32 v18, 0
	s_and_not1_b32 vcc_lo, exec_lo, s41
	v_cmp_gt_i64_e64 s2, s[24:25], v[9:10]
	s_cbranch_vccnz .LBB5_41
; %bb.13:                               ;   in Loop: Header=BB5_12 Depth=1
	v_lshlrev_b64 v[11:12], 3, v[9:10]
	v_mov_b32_e32 v17, 0
	v_mov_b32_e32 v18, 0
	s_mov_b64 s[28:29], s[12:13]
	s_delay_alu instid0(VALU_DEP_3) | instskip(NEXT) | instid1(VALU_DEP_4)
	v_add_co_u32 v34, vcc_lo, s10, v11
	v_add_co_ci_u32_e32 v35, vcc_lo, s11, v12, vcc_lo
	v_dual_mov_b32 v12, v8 :: v_dual_mov_b32 v11, v7
	s_branch .LBB5_15
.LBB5_14:                               ;   in Loop: Header=BB5_15 Depth=2
	s_add_u32 s28, s28, 1
	s_addc_u32 s29, s29, 0
	v_add_co_u32 v11, vcc_lo, v11, s26
	v_cmp_ge_i64_e64 s30, s[28:29], s[22:23]
	v_add_co_ci_u32_e32 v12, vcc_lo, s27, v12, vcc_lo
	s_delay_alu instid0(VALU_DEP_2)
	s_and_b32 vcc_lo, exec_lo, s30
	s_cbranch_vccnz .LBB5_41
.LBB5_15:                               ;   Parent Loop BB5_12 Depth=1
                                        ; =>  This Loop Header: Depth=2
                                        ;       Child Loop BB5_17 Depth 3
	s_mul_i32 s30, s14, s29
	s_mul_hi_u32 s31, s14, s28
	s_mul_i32 s35, s15, s28
	s_add_i32 s34, s31, s30
	s_lshl_b64 s[30:31], s[28:29], 3
	s_add_i32 s35, s34, s35
	s_add_u32 s30, s8, s30
	s_addc_u32 s31, s9, s31
	s_mul_i32 s34, s14, s28
	s_load_b64 s[30:31], s[30:31], 0x0
	v_dual_mov_b32 v16, v12 :: v_dual_mov_b32 v15, v11
	s_waitcnt lgkmcnt(0)
	s_sub_u32 s43, s30, s37
	s_subb_u32 s42, s31, 0
	v_mad_u64_u32 v[13:14], null, s4, s43, v[5:6]
	s_lshl_b64 s[30:31], s[34:35], 3
	s_mul_i32 s44, s5, s43
	v_add_co_u32 v36, vcc_lo, v34, s30
	s_mul_i32 s30, s4, s42
	s_mul_i32 s34, s43, s25
	s_mul_hi_u32 s35, s43, s24
	v_add_co_ci_u32_e32 v37, vcc_lo, s31, v35, vcc_lo
	v_add3_u32 v14, s30, s44, v14
	s_mul_i32 s45, s42, s24
	s_add_i32 s31, s35, s34
	s_mul_i32 s43, s43, s24
	s_add_i32 s42, s31, s45
	s_mov_b64 s[30:31], 0
	s_branch .LBB5_17
.LBB5_16:                               ;   in Loop: Header=BB5_17 Depth=3
	s_or_b32 exec_lo, exec_lo, s34
	s_waitcnt vmcnt(0)
	ds_store_b64 v28, v[21:22]
	s_waitcnt lgkmcnt(0)
	s_waitcnt_vscnt null, 0x0
	s_barrier
	buffer_gl0_inv
	ds_load_2addr_b64 v[19:22], v30 offset1:32
	ds_load_b128 v[38:41], v33
	ds_load_b128 v[42:45], v33 offset:16
	v_add_nc_u32_e32 v46, 0x800, v30
	s_add_u32 s30, s30, 32
	s_addc_u32 s31, s31, 0
	v_add_co_u32 v13, vcc_lo, 0x100, v13
	v_cmp_ge_i64_e64 s34, s[30:31], s[24:25]
	v_add_co_ci_u32_e32 v14, vcc_lo, 0, v14, vcc_lo
	v_add_co_u32 v15, vcc_lo, 0x100, v15
	v_add_co_ci_u32_e32 v16, vcc_lo, 0, v16, vcc_lo
	s_delay_alu instid0(VALU_DEP_4) | instskip(SKIP_2) | instid1(VALU_DEP_1)
	s_and_b32 vcc_lo, exec_lo, s34
	s_waitcnt lgkmcnt(1)
	v_fma_f64 v[17:18], v[19:20], v[38:39], v[17:18]
	v_fma_f64 v[21:22], v[21:22], v[40:41], v[17:18]
	ds_load_2addr_b64 v[17:20], v30 offset0:64 offset1:96
	s_waitcnt lgkmcnt(0)
	v_fma_f64 v[17:18], v[17:18], v[42:43], v[21:22]
	s_delay_alu instid0(VALU_DEP_1)
	v_fma_f64 v[21:22], v[19:20], v[44:45], v[17:18]
	ds_load_2addr_b64 v[17:20], v30 offset0:128 offset1:160
	ds_load_b128 v[38:41], v33 offset:32
	ds_load_b128 v[42:45], v33 offset:48
	s_waitcnt lgkmcnt(1)
	v_fma_f64 v[17:18], v[17:18], v[38:39], v[21:22]
	s_delay_alu instid0(VALU_DEP_1) | instskip(SKIP_3) | instid1(VALU_DEP_1)
	v_fma_f64 v[21:22], v[19:20], v[40:41], v[17:18]
	ds_load_2addr_b64 v[17:20], v30 offset0:192 offset1:224
	s_waitcnt lgkmcnt(0)
	v_fma_f64 v[17:18], v[17:18], v[42:43], v[21:22]
	v_fma_f64 v[21:22], v[19:20], v[44:45], v[17:18]
	ds_load_2addr_b64 v[17:20], v46 offset1:32
	ds_load_b128 v[38:41], v33 offset:64
	ds_load_b128 v[42:45], v33 offset:80
	s_waitcnt lgkmcnt(1)
	v_fma_f64 v[17:18], v[17:18], v[38:39], v[21:22]
	s_delay_alu instid0(VALU_DEP_1) | instskip(SKIP_3) | instid1(VALU_DEP_1)
	v_fma_f64 v[21:22], v[19:20], v[40:41], v[17:18]
	ds_load_2addr_b64 v[17:20], v46 offset0:64 offset1:96
	s_waitcnt lgkmcnt(0)
	v_fma_f64 v[17:18], v[17:18], v[42:43], v[21:22]
	v_fma_f64 v[21:22], v[19:20], v[44:45], v[17:18]
	ds_load_2addr_b64 v[17:20], v46 offset0:128 offset1:160
	ds_load_b128 v[38:41], v33 offset:96
	ds_load_b128 v[42:45], v33 offset:112
	s_waitcnt lgkmcnt(1)
	v_fma_f64 v[17:18], v[17:18], v[38:39], v[21:22]
	s_delay_alu instid0(VALU_DEP_1) | instskip(SKIP_4) | instid1(VALU_DEP_1)
	v_fma_f64 v[21:22], v[19:20], v[40:41], v[17:18]
	ds_load_2addr_b64 v[17:20], v46 offset0:192 offset1:224
	v_add_nc_u32_e32 v46, 0x1000, v30
	s_waitcnt lgkmcnt(0)
	v_fma_f64 v[17:18], v[17:18], v[42:43], v[21:22]
	v_fma_f64 v[21:22], v[19:20], v[44:45], v[17:18]
	ds_load_2addr_b64 v[17:20], v46 offset1:32
	ds_load_b128 v[38:41], v33 offset:128
	ds_load_b128 v[42:45], v33 offset:144
	s_waitcnt lgkmcnt(1)
	v_fma_f64 v[17:18], v[17:18], v[38:39], v[21:22]
	s_delay_alu instid0(VALU_DEP_1) | instskip(SKIP_3) | instid1(VALU_DEP_1)
	v_fma_f64 v[21:22], v[19:20], v[40:41], v[17:18]
	ds_load_2addr_b64 v[17:20], v46 offset0:64 offset1:96
	s_waitcnt lgkmcnt(0)
	v_fma_f64 v[17:18], v[17:18], v[42:43], v[21:22]
	v_fma_f64 v[21:22], v[19:20], v[44:45], v[17:18]
	ds_load_2addr_b64 v[17:20], v46 offset0:128 offset1:160
	ds_load_b128 v[38:41], v33 offset:160
	ds_load_b128 v[42:45], v33 offset:176
	s_waitcnt lgkmcnt(1)
	v_fma_f64 v[17:18], v[17:18], v[38:39], v[21:22]
	s_delay_alu instid0(VALU_DEP_1) | instskip(SKIP_4) | instid1(VALU_DEP_1)
	v_fma_f64 v[21:22], v[19:20], v[40:41], v[17:18]
	ds_load_2addr_b64 v[17:20], v46 offset0:192 offset1:224
	v_add_nc_u32_e32 v46, 0x1800, v30
	s_waitcnt lgkmcnt(0)
	v_fma_f64 v[17:18], v[17:18], v[42:43], v[21:22]
	v_fma_f64 v[21:22], v[19:20], v[44:45], v[17:18]
	ds_load_2addr_b64 v[17:20], v46 offset1:32
	ds_load_b128 v[38:41], v33 offset:192
	ds_load_b128 v[42:45], v33 offset:208
	s_waitcnt lgkmcnt(1)
	v_fma_f64 v[17:18], v[17:18], v[38:39], v[21:22]
	s_delay_alu instid0(VALU_DEP_1) | instskip(SKIP_3) | instid1(VALU_DEP_1)
	v_fma_f64 v[21:22], v[19:20], v[40:41], v[17:18]
	ds_load_2addr_b64 v[17:20], v46 offset0:64 offset1:96
	s_waitcnt lgkmcnt(0)
	v_fma_f64 v[17:18], v[17:18], v[42:43], v[21:22]
	v_fma_f64 v[21:22], v[19:20], v[44:45], v[17:18]
	ds_load_2addr_b64 v[17:20], v46 offset0:128 offset1:160
	ds_load_b128 v[38:41], v33 offset:224
	ds_load_b128 v[42:45], v33 offset:240
	s_waitcnt lgkmcnt(1)
	v_fma_f64 v[17:18], v[17:18], v[38:39], v[21:22]
	s_delay_alu instid0(VALU_DEP_1)
	v_fma_f64 v[21:22], v[19:20], v[40:41], v[17:18]
	ds_load_2addr_b64 v[17:20], v46 offset0:192 offset1:224
	s_waitcnt lgkmcnt(0)
	s_barrier
	buffer_gl0_inv
	v_fma_f64 v[17:18], v[17:18], v[42:43], v[21:22]
	s_delay_alu instid0(VALU_DEP_1)
	v_fma_f64 v[17:18], v[19:20], v[44:45], v[17:18]
	s_cbranch_vccnz .LBB5_14
.LBB5_17:                               ;   Parent Loop BB5_12 Depth=1
                                        ;     Parent Loop BB5_15 Depth=2
                                        ; =>    This Inner Loop Header: Depth=3
	s_and_b32 vcc_lo, exec_lo, s36
	s_cbranch_vccz .LBB5_23
; %bb.18:                               ;   in Loop: Header=BB5_17 Depth=3
	s_mov_b32 s45, 0
	s_mov_b32 s44, 0
                                        ; implicit-def: $vgpr19_vgpr20
	s_and_saveexec_b32 s34, s0
	s_cbranch_execz .LBB5_22
; %bb.19:                               ;   in Loop: Header=BB5_17 Depth=3
	v_add_co_u32 v21, s35, s30, v0
	s_delay_alu instid0(VALU_DEP_1) | instskip(SKIP_2) | instid1(VALU_DEP_1)
	v_add_co_ci_u32_e64 v22, null, s31, 0, s35
	s_mov_b32 s35, 0
	s_mov_b32 s44, exec_lo
                                        ; implicit-def: $vgpr19_vgpr20
	v_cmpx_gt_i64_e64 s[24:25], v[21:22]
	s_xor_b32 s44, exec_lo, s44
; %bb.20:                               ;   in Loop: Header=BB5_17 Depth=3
	v_add_co_u32 v21, vcc_lo, v21, s43
	v_add_co_ci_u32_e32 v19, vcc_lo, s42, v22, vcc_lo
	s_mov_b32 s35, exec_lo
	s_delay_alu instid0(VALU_DEP_2) | instskip(NEXT) | instid1(VALU_DEP_2)
	v_mul_lo_u32 v38, v21, s19
	v_mul_lo_u32 v22, v19, s18
	v_mad_u64_u32 v[19:20], null, v21, s18, 0
	s_delay_alu instid0(VALU_DEP_1) | instskip(NEXT) | instid1(VALU_DEP_1)
	v_add3_u32 v20, v20, v38, v22
	v_lshlrev_b64 v[19:20], 3, v[19:20]
	s_delay_alu instid0(VALU_DEP_1) | instskip(NEXT) | instid1(VALU_DEP_2)
	v_add_co_u32 v19, vcc_lo, v26, v19
	v_add_co_ci_u32_e32 v20, vcc_lo, v27, v20, vcc_lo
; %bb.21:                               ;   in Loop: Header=BB5_17 Depth=3
	s_or_b32 exec_lo, exec_lo, s44
	s_delay_alu instid0(SALU_CYCLE_1)
	s_and_b32 s44, s35, exec_lo
.LBB5_22:                               ;   in Loop: Header=BB5_17 Depth=3
	s_or_b32 exec_lo, exec_lo, s34
	s_mov_b64 s[34:35], 0
	s_and_b32 vcc_lo, exec_lo, s45
	s_cbranch_vccnz .LBB5_24
	s_branch .LBB5_27
.LBB5_23:                               ;   in Loop: Header=BB5_17 Depth=3
	s_mov_b32 s44, 0
                                        ; implicit-def: $vgpr19_vgpr20
                                        ; implicit-def: $sgpr34_sgpr35
	s_cbranch_execz .LBB5_27
.LBB5_24:                               ;   in Loop: Header=BB5_17 Depth=3
	s_and_saveexec_b32 s34, s0
; %bb.25:                               ;   in Loop: Header=BB5_17 Depth=3
	v_add_co_u32 v19, s35, v0, s30
	s_delay_alu instid0(VALU_DEP_1) | instskip(SKIP_1) | instid1(VALU_DEP_1)
	v_add_co_ci_u32_e64 v20, null, 0, s31, s35
	s_and_not1_b32 s35, s44, exec_lo
	v_cmp_gt_i64_e32 vcc_lo, s[24:25], v[19:20]
	s_and_b32 s44, vcc_lo, exec_lo
	s_delay_alu instid0(SALU_CYCLE_1)
	s_or_b32 s44, s35, s44
; %bb.26:                               ;   in Loop: Header=BB5_17 Depth=3
	s_or_b32 exec_lo, exec_lo, s34
	v_dual_mov_b32 v20, v14 :: v_dual_mov_b32 v19, v13
	s_mov_b64 s[34:35], 0
.LBB5_27:                               ;   in Loop: Header=BB5_17 Depth=3
	s_delay_alu instid0(SALU_CYCLE_1)
	v_dual_mov_b32 v21, s34 :: v_dual_mov_b32 v22, s35
	s_and_saveexec_b32 s34, s44
	s_cbranch_execnz .LBB5_35
; %bb.28:                               ;   in Loop: Header=BB5_17 Depth=3
	s_or_b32 exec_lo, exec_lo, s34
	s_delay_alu instid0(SALU_CYCLE_1)
	s_and_b32 vcc_lo, exec_lo, s38
	ds_store_b64 v29, v[21:22]
	s_cbranch_vccz .LBB5_36
.LBB5_29:                               ;   in Loop: Header=BB5_17 Depth=3
	s_mov_b32 s45, 0
	s_mov_b32 s44, 0
                                        ; implicit-def: $vgpr19_vgpr20
	s_and_saveexec_b32 s34, s2
	s_cbranch_execz .LBB5_33
; %bb.30:                               ;   in Loop: Header=BB5_17 Depth=3
	v_add_co_u32 v21, s35, s30, v23
	s_delay_alu instid0(VALU_DEP_1) | instskip(SKIP_2) | instid1(VALU_DEP_1)
	v_add_co_ci_u32_e64 v22, null, s31, 0, s35
	s_mov_b32 s35, 0
	s_mov_b32 s44, exec_lo
                                        ; implicit-def: $vgpr19_vgpr20
	v_cmpx_gt_i64_e64 s[24:25], v[21:22]
	s_xor_b32 s44, exec_lo, s44
; %bb.31:                               ;   in Loop: Header=BB5_17 Depth=3
	v_mul_lo_u32 v22, v22, s24
	v_mul_lo_u32 v38, v21, s25
	v_mad_u64_u32 v[19:20], null, v21, s24, 0
	s_mov_b32 s35, exec_lo
	s_delay_alu instid0(VALU_DEP_1) | instskip(NEXT) | instid1(VALU_DEP_1)
	v_add3_u32 v20, v20, v38, v22
	v_lshlrev_b64 v[19:20], 3, v[19:20]
	s_delay_alu instid0(VALU_DEP_1) | instskip(NEXT) | instid1(VALU_DEP_2)
	v_add_co_u32 v19, vcc_lo, v36, v19
	v_add_co_ci_u32_e32 v20, vcc_lo, v37, v20, vcc_lo
; %bb.32:                               ;   in Loop: Header=BB5_17 Depth=3
	s_or_b32 exec_lo, exec_lo, s44
	s_delay_alu instid0(SALU_CYCLE_1)
	s_and_b32 s44, s35, exec_lo
.LBB5_33:                               ;   in Loop: Header=BB5_17 Depth=3
	s_or_b32 exec_lo, exec_lo, s34
	s_mov_b64 s[34:35], 0
	s_and_b32 vcc_lo, exec_lo, s45
	s_cbranch_vccnz .LBB5_37
.LBB5_34:                               ;   in Loop: Header=BB5_17 Depth=3
	v_dual_mov_b32 v21, s34 :: v_dual_mov_b32 v22, s35
	s_and_saveexec_b32 s34, s44
	s_cbranch_execz .LBB5_16
	s_branch .LBB5_40
.LBB5_35:                               ;   in Loop: Header=BB5_17 Depth=3
	global_load_b64 v[21:22], v[19:20], off
	s_or_b32 exec_lo, exec_lo, s34
	s_delay_alu instid0(SALU_CYCLE_1)
	s_and_b32 vcc_lo, exec_lo, s38
	s_waitcnt vmcnt(0)
	ds_store_b64 v29, v[21:22]
	s_cbranch_vccnz .LBB5_29
.LBB5_36:                               ;   in Loop: Header=BB5_17 Depth=3
	s_mov_b32 s44, 0
                                        ; implicit-def: $vgpr19_vgpr20
                                        ; implicit-def: $sgpr34_sgpr35
	s_cbranch_execz .LBB5_34
.LBB5_37:                               ;   in Loop: Header=BB5_17 Depth=3
	s_and_saveexec_b32 s34, s2
; %bb.38:                               ;   in Loop: Header=BB5_17 Depth=3
	v_add_co_u32 v19, s35, v23, s30
	s_delay_alu instid0(VALU_DEP_1) | instskip(SKIP_1) | instid1(VALU_DEP_1)
	v_add_co_ci_u32_e64 v20, null, 0, s31, s35
	s_and_not1_b32 s35, s44, exec_lo
	v_cmp_gt_i64_e32 vcc_lo, s[24:25], v[19:20]
	s_and_b32 s44, vcc_lo, exec_lo
	s_delay_alu instid0(SALU_CYCLE_1)
	s_or_b32 s44, s35, s44
; %bb.39:                               ;   in Loop: Header=BB5_17 Depth=3
	s_or_b32 exec_lo, exec_lo, s34
	v_dual_mov_b32 v20, v16 :: v_dual_mov_b32 v19, v15
	s_mov_b64 s[34:35], 0
	s_delay_alu instid0(SALU_CYCLE_1)
	v_dual_mov_b32 v21, s34 :: v_dual_mov_b32 v22, s35
	s_and_saveexec_b32 s34, s44
	s_cbranch_execz .LBB5_16
.LBB5_40:                               ;   in Loop: Header=BB5_17 Depth=3
	global_load_b64 v[21:22], v[19:20], off
	s_branch .LBB5_16
.LBB5_41:                               ;   in Loop: Header=BB5_12 Depth=1
	v_cmp_gt_i64_e32 vcc_lo, s[24:25], v[9:10]
	s_and_b32 s28, s39, vcc_lo
	s_delay_alu instid0(SALU_CYCLE_1)
	s_and_saveexec_b32 s2, s28
	s_cbranch_execz .LBB5_11
; %bb.42:                               ;   in Loop: Header=BB5_12 Depth=1
	v_add_co_u32 v9, vcc_lo, v9, s3
	v_add_co_ci_u32_e32 v10, vcc_lo, s33, v10, vcc_lo
	s_and_saveexec_b32 s28, s1
	s_delay_alu instid0(SALU_CYCLE_1)
	s_xor_b32 s28, exec_lo, s28
	s_cbranch_execz .LBB5_47
; %bb.43:                               ;   in Loop: Header=BB5_12 Depth=1
	s_and_b32 vcc_lo, exec_lo, s40
	s_mov_b32 s29, -1
	s_cbranch_vccz .LBB5_45
; %bb.44:                               ;   in Loop: Header=BB5_12 Depth=1
	v_mul_lo_u32 v13, v10, s6
	v_mul_lo_u32 v14, v9, s7
	v_mad_u64_u32 v[11:12], null, v9, s6, 0
	v_mul_f64 v[15:16], v[1:2], v[17:18]
	s_mov_b32 s29, 0
	s_delay_alu instid0(VALU_DEP_2) | instskip(NEXT) | instid1(VALU_DEP_1)
	v_add3_u32 v12, v12, v14, v13
	v_lshlrev_b64 v[11:12], 3, v[11:12]
	s_delay_alu instid0(VALU_DEP_1) | instskip(NEXT) | instid1(VALU_DEP_2)
	v_add_co_u32 v11, vcc_lo, v24, v11
	v_add_co_ci_u32_e32 v12, vcc_lo, v25, v12, vcc_lo
	global_load_b64 v[13:14], v[11:12], off
	s_waitcnt vmcnt(0)
	v_fma_f64 v[13:14], v[3:4], v[13:14], v[15:16]
	global_store_b64 v[11:12], v[13:14], off
.LBB5_45:                               ;   in Loop: Header=BB5_12 Depth=1
	s_and_not1_b32 vcc_lo, exec_lo, s29
	s_cbranch_vccnz .LBB5_47
; %bb.46:                               ;   in Loop: Header=BB5_12 Depth=1
	v_lshlrev_b64 v[9:10], 3, v[9:10]
	v_mul_f64 v[13:14], v[1:2], v[17:18]
                                        ; implicit-def: $vgpr17_vgpr18
	s_delay_alu instid0(VALU_DEP_2) | instskip(NEXT) | instid1(VALU_DEP_3)
	v_add_co_u32 v9, vcc_lo, v31, v9
	v_add_co_ci_u32_e32 v10, vcc_lo, v32, v10, vcc_lo
	global_load_b64 v[11:12], v[9:10], off
	s_waitcnt vmcnt(0)
	v_fma_f64 v[11:12], v[3:4], v[11:12], v[13:14]
	global_store_b64 v[9:10], v[11:12], off
                                        ; implicit-def: $vgpr9_vgpr10
.LBB5_47:                               ;   in Loop: Header=BB5_12 Depth=1
	s_and_not1_saveexec_b32 s28, s28
	s_cbranch_execz .LBB5_11
; %bb.48:                               ;   in Loop: Header=BB5_12 Depth=1
	v_mul_f64 v[11:12], v[1:2], v[17:18]
	s_and_b32 vcc_lo, exec_lo, s40
	s_mov_b32 s28, -1
	s_cbranch_vccz .LBB5_50
; %bb.49:                               ;   in Loop: Header=BB5_12 Depth=1
	v_mul_lo_u32 v15, v10, s6
	v_mul_lo_u32 v16, v9, s7
	v_mad_u64_u32 v[13:14], null, v9, s6, 0
	s_mov_b32 s28, 0
	s_delay_alu instid0(VALU_DEP_1) | instskip(NEXT) | instid1(VALU_DEP_1)
	v_add3_u32 v14, v14, v16, v15
	v_lshlrev_b64 v[13:14], 3, v[13:14]
	s_delay_alu instid0(VALU_DEP_1) | instskip(NEXT) | instid1(VALU_DEP_2)
	v_add_co_u32 v13, vcc_lo, v24, v13
	v_add_co_ci_u32_e32 v14, vcc_lo, v25, v14, vcc_lo
	global_store_b64 v[13:14], v[11:12], off
.LBB5_50:                               ;   in Loop: Header=BB5_12 Depth=1
	s_and_not1_b32 vcc_lo, exec_lo, s28
	s_cbranch_vccnz .LBB5_11
; %bb.51:                               ;   in Loop: Header=BB5_12 Depth=1
	v_lshlrev_b64 v[9:10], 3, v[9:10]
	s_delay_alu instid0(VALU_DEP_1) | instskip(NEXT) | instid1(VALU_DEP_2)
	v_add_co_u32 v9, vcc_lo, v31, v9
	v_add_co_ci_u32_e32 v10, vcc_lo, v32, v10, vcc_lo
	global_store_b64 v[9:10], v[11:12], off
	s_branch .LBB5_11
.LBB5_52:
	s_nop 0
	s_sendmsg sendmsg(MSG_DEALLOC_VGPRS)
	s_endpgm
	.section	.rodata,"a",@progbits
	.p2align	6, 0x0
	.amdhsa_kernel _ZN9rocsparseL29bsrmm_general_blockdim_kernelILj32ELj32EllddddEEvb20rocsparse_direction_T2_S2_llNS_24const_host_device_scalarIT6_EEPKT1_PKS2_PKT3_S2_PKT4_llS5_PT5_ll16rocsparse_order_21rocsparse_index_base_b
		.amdhsa_group_segment_fixed_size 16384
		.amdhsa_private_segment_fixed_size 0
		.amdhsa_kernarg_size 148
		.amdhsa_user_sgpr_count 14
		.amdhsa_user_sgpr_dispatch_ptr 0
		.amdhsa_user_sgpr_queue_ptr 0
		.amdhsa_user_sgpr_kernarg_segment_ptr 1
		.amdhsa_user_sgpr_dispatch_id 0
		.amdhsa_user_sgpr_private_segment_size 0
		.amdhsa_wavefront_size32 1
		.amdhsa_uses_dynamic_stack 0
		.amdhsa_enable_private_segment 0
		.amdhsa_system_sgpr_workgroup_id_x 1
		.amdhsa_system_sgpr_workgroup_id_y 1
		.amdhsa_system_sgpr_workgroup_id_z 0
		.amdhsa_system_sgpr_workgroup_info 0
		.amdhsa_system_vgpr_workitem_id 1
		.amdhsa_next_free_vgpr 47
		.amdhsa_next_free_sgpr 46
		.amdhsa_reserve_vcc 1
		.amdhsa_float_round_mode_32 0
		.amdhsa_float_round_mode_16_64 0
		.amdhsa_float_denorm_mode_32 3
		.amdhsa_float_denorm_mode_16_64 3
		.amdhsa_dx10_clamp 1
		.amdhsa_ieee_mode 1
		.amdhsa_fp16_overflow 0
		.amdhsa_workgroup_processor_mode 1
		.amdhsa_memory_ordered 1
		.amdhsa_forward_progress 0
		.amdhsa_shared_vgpr_count 0
		.amdhsa_exception_fp_ieee_invalid_op 0
		.amdhsa_exception_fp_denorm_src 0
		.amdhsa_exception_fp_ieee_div_zero 0
		.amdhsa_exception_fp_ieee_overflow 0
		.amdhsa_exception_fp_ieee_underflow 0
		.amdhsa_exception_fp_ieee_inexact 0
		.amdhsa_exception_int_div_zero 0
	.end_amdhsa_kernel
	.section	.text._ZN9rocsparseL29bsrmm_general_blockdim_kernelILj32ELj32EllddddEEvb20rocsparse_direction_T2_S2_llNS_24const_host_device_scalarIT6_EEPKT1_PKS2_PKT3_S2_PKT4_llS5_PT5_ll16rocsparse_order_21rocsparse_index_base_b,"axG",@progbits,_ZN9rocsparseL29bsrmm_general_blockdim_kernelILj32ELj32EllddddEEvb20rocsparse_direction_T2_S2_llNS_24const_host_device_scalarIT6_EEPKT1_PKS2_PKT3_S2_PKT4_llS5_PT5_ll16rocsparse_order_21rocsparse_index_base_b,comdat
.Lfunc_end5:
	.size	_ZN9rocsparseL29bsrmm_general_blockdim_kernelILj32ELj32EllddddEEvb20rocsparse_direction_T2_S2_llNS_24const_host_device_scalarIT6_EEPKT1_PKS2_PKT3_S2_PKT4_llS5_PT5_ll16rocsparse_order_21rocsparse_index_base_b, .Lfunc_end5-_ZN9rocsparseL29bsrmm_general_blockdim_kernelILj32ELj32EllddddEEvb20rocsparse_direction_T2_S2_llNS_24const_host_device_scalarIT6_EEPKT1_PKS2_PKT3_S2_PKT4_llS5_PT5_ll16rocsparse_order_21rocsparse_index_base_b
                                        ; -- End function
	.section	.AMDGPU.csdata,"",@progbits
; Kernel info:
; codeLenInByte = 2864
; NumSgprs: 48
; NumVgprs: 47
; ScratchSize: 0
; MemoryBound: 0
; FloatMode: 240
; IeeeMode: 1
; LDSByteSize: 16384 bytes/workgroup (compile time only)
; SGPRBlocks: 5
; VGPRBlocks: 5
; NumSGPRsForWavesPerEU: 48
; NumVGPRsForWavesPerEU: 47
; Occupancy: 16
; WaveLimiterHint : 1
; COMPUTE_PGM_RSRC2:SCRATCH_EN: 0
; COMPUTE_PGM_RSRC2:USER_SGPR: 14
; COMPUTE_PGM_RSRC2:TRAP_HANDLER: 0
; COMPUTE_PGM_RSRC2:TGID_X_EN: 1
; COMPUTE_PGM_RSRC2:TGID_Y_EN: 1
; COMPUTE_PGM_RSRC2:TGID_Z_EN: 0
; COMPUTE_PGM_RSRC2:TIDIG_COMP_CNT: 1
	.section	.text._ZN9rocsparseL29bsrmm_general_blockdim_kernelILj32ELj32Eii21rocsparse_complex_numIfES2_S2_S2_EEvb20rocsparse_direction_T2_S4_llNS_24const_host_device_scalarIT6_EEPKT1_PKS4_PKT3_S4_PKT4_llS7_PT5_ll16rocsparse_order_21rocsparse_index_base_b,"axG",@progbits,_ZN9rocsparseL29bsrmm_general_blockdim_kernelILj32ELj32Eii21rocsparse_complex_numIfES2_S2_S2_EEvb20rocsparse_direction_T2_S4_llNS_24const_host_device_scalarIT6_EEPKT1_PKS4_PKT3_S4_PKT4_llS7_PT5_ll16rocsparse_order_21rocsparse_index_base_b,comdat
	.globl	_ZN9rocsparseL29bsrmm_general_blockdim_kernelILj32ELj32Eii21rocsparse_complex_numIfES2_S2_S2_EEvb20rocsparse_direction_T2_S4_llNS_24const_host_device_scalarIT6_EEPKT1_PKS4_PKT3_S4_PKT4_llS7_PT5_ll16rocsparse_order_21rocsparse_index_base_b ; -- Begin function _ZN9rocsparseL29bsrmm_general_blockdim_kernelILj32ELj32Eii21rocsparse_complex_numIfES2_S2_S2_EEvb20rocsparse_direction_T2_S4_llNS_24const_host_device_scalarIT6_EEPKT1_PKS4_PKT3_S4_PKT4_llS7_PT5_ll16rocsparse_order_21rocsparse_index_base_b
	.p2align	8
	.type	_ZN9rocsparseL29bsrmm_general_blockdim_kernelILj32ELj32Eii21rocsparse_complex_numIfES2_S2_S2_EEvb20rocsparse_direction_T2_S4_llNS_24const_host_device_scalarIT6_EEPKT1_PKS4_PKT3_S4_PKT4_llS7_PT5_ll16rocsparse_order_21rocsparse_index_base_b,@function
_ZN9rocsparseL29bsrmm_general_blockdim_kernelILj32ELj32Eii21rocsparse_complex_numIfES2_S2_S2_EEvb20rocsparse_direction_T2_S4_llNS_24const_host_device_scalarIT6_EEPKT1_PKS4_PKT3_S4_PKT4_llS7_PT5_ll16rocsparse_order_21rocsparse_index_base_b: ; @_ZN9rocsparseL29bsrmm_general_blockdim_kernelILj32ELj32Eii21rocsparse_complex_numIfES2_S2_S2_EEvb20rocsparse_direction_T2_S4_llNS_24const_host_device_scalarIT6_EEPKT1_PKS4_PKT3_S4_PKT4_llS7_PT5_ll16rocsparse_order_21rocsparse_index_base_b
; %bb.0:
	s_clause 0x2
	s_load_b128 s[4:7], s[0:1], 0x80
	s_load_b64 s[10:11], s[0:1], 0x20
	s_load_b64 s[8:9], s[0:1], 0x60
	s_mov_b32 s2, s15
	s_waitcnt lgkmcnt(0)
	s_bitcmp1_b32 s6, 0
	v_mov_b32_e32 v5, s10
	s_cselect_b32 s3, -1, 0
	s_delay_alu instid0(SALU_CYCLE_1)
	s_and_b32 vcc_lo, exec_lo, s3
	s_xor_b32 s3, s3, -1
	s_cbranch_vccz .LBB6_11
; %bb.1:
	v_cndmask_b32_e64 v1, 0, 1, s3
	v_mov_b32_e32 v6, s11
	s_and_not1_b32 vcc_lo, exec_lo, s3
	s_cbranch_vccz .LBB6_12
.LBB6_2:
	s_delay_alu instid0(VALU_DEP_2)
	v_cmp_ne_u32_e32 vcc_lo, 1, v1
	v_mov_b32_e32 v7, s8
	s_cbranch_vccz .LBB6_13
.LBB6_3:
	v_cmp_ne_u32_e32 vcc_lo, 1, v1
	v_mov_b32_e32 v8, s9
	s_cbranch_vccnz .LBB6_5
.LBB6_4:
	v_dual_mov_b32 v1, s8 :: v_dual_mov_b32 v2, s9
	flat_load_b32 v8, v[1:2] offset:4
.LBB6_5:
	s_waitcnt vmcnt(0) lgkmcnt(0)
	v_cmp_eq_f32_e32 vcc_lo, 0, v5
	v_cmp_eq_f32_e64 s3, 0, v6
	s_delay_alu instid0(VALU_DEP_1)
	s_and_b32 s7, vcc_lo, s3
	s_mov_b32 s3, -1
	s_and_saveexec_b32 s6, s7
; %bb.6:
	v_cmp_neq_f32_e32 vcc_lo, 1.0, v7
	v_cmp_neq_f32_e64 s3, 0, v8
	s_delay_alu instid0(VALU_DEP_1) | instskip(NEXT) | instid1(SALU_CYCLE_1)
	s_or_b32 s3, vcc_lo, s3
	s_or_not1_b32 s3, s3, exec_lo
; %bb.7:
	s_or_b32 exec_lo, exec_lo, s6
	s_and_saveexec_b32 s6, s3
	s_cbranch_execz .LBB6_64
; %bb.8:
	s_clause 0x1
	s_load_b128 s[24:27], s[0:1], 0x0
	s_load_b64 s[6:7], s[0:1], 0x28
	s_mov_b32 s12, 0
	s_mov_b32 s13, 0
	s_waitcnt lgkmcnt(0)
	s_cmp_lt_i32 s14, s26
	s_cselect_b32 s3, -1, 0
	s_cmp_ge_i32 s14, s26
	s_cbranch_scc0 .LBB6_14
; %bb.9:
	s_and_not1_b32 vcc_lo, exec_lo, s3
	s_cbranch_vccz .LBB6_15
.LBB6_10:
	s_load_b32 s6, s[0:1], 0x40
	s_waitcnt lgkmcnt(0)
	s_cmp_lt_i32 s6, 1
	s_cbranch_scc0 .LBB6_16
	s_branch .LBB6_64
.LBB6_11:
	v_dual_mov_b32 v1, s10 :: v_dual_mov_b32 v2, s11
	flat_load_b32 v5, v[1:2]
	v_cndmask_b32_e64 v1, 0, 1, s3
	v_mov_b32_e32 v6, s11
	s_and_not1_b32 vcc_lo, exec_lo, s3
	s_cbranch_vccnz .LBB6_2
.LBB6_12:
	v_dual_mov_b32 v2, s10 :: v_dual_mov_b32 v3, s11
	flat_load_b32 v6, v[2:3] offset:4
	v_cmp_ne_u32_e32 vcc_lo, 1, v1
	v_mov_b32_e32 v7, s8
	s_cbranch_vccnz .LBB6_3
.LBB6_13:
	v_dual_mov_b32 v2, s8 :: v_dual_mov_b32 v3, s9
	flat_load_b32 v7, v[2:3]
	v_cmp_ne_u32_e32 vcc_lo, 1, v1
	v_mov_b32_e32 v8, s9
	s_cbranch_vccz .LBB6_4
	s_branch .LBB6_5
.LBB6_14:
	s_ashr_i32 s15, s14, 31
	s_delay_alu instid0(SALU_CYCLE_1) | instskip(NEXT) | instid1(SALU_CYCLE_1)
	s_lshl_b64 s[8:9], s[14:15], 2
	s_add_u32 s8, s6, s8
	s_addc_u32 s9, s7, s9
	s_load_b32 s8, s[8:9], 0x0
	s_waitcnt lgkmcnt(0)
	s_sub_i32 s13, s8, s5
	s_and_not1_b32 vcc_lo, exec_lo, s3
	s_cbranch_vccnz .LBB6_10
.LBB6_15:
	s_ashr_i32 s15, s14, 31
	s_delay_alu instid0(SALU_CYCLE_1) | instskip(NEXT) | instid1(SALU_CYCLE_1)
	s_lshl_b64 s[8:9], s[14:15], 2
	s_add_u32 s6, s6, s8
	s_addc_u32 s7, s7, s9
	s_load_b32 s6, s[6:7], 0x4
	s_waitcnt lgkmcnt(0)
	s_sub_i32 s12, s6, s5
	s_load_b32 s6, s[0:1], 0x40
	s_waitcnt lgkmcnt(0)
	s_cmp_lt_i32 s6, 1
	s_cbranch_scc1 .LBB6_64
.LBB6_16:
	s_load_b128 s[8:11], s[0:1], 0x48
	v_bfe_u32 v9, v0, 10, 10
	s_clause 0x1
	s_load_b128 s[16:19], s[0:1], 0x30
	s_load_b128 s[20:23], s[0:1], 0x68
	v_and_b32_e32 v10, 0x3ff, v0
	s_bitcmp1_b32 s24, 0
	s_mul_i32 s7, s14, s6
	v_lshl_add_u32 v1, s2, 5, v9
	v_lshlrev_b32_e32 v0, 5, v9
	s_cselect_b32 s0, -1, 0
	v_cmp_neq_f32_e32 vcc_lo, 0, v7
	s_xor_b32 s14, s0, -1
	v_ashrrev_i32_e32 v2, 31, v1
	v_add_lshl_u32 v11, v0, v10, 3
	v_cmp_gt_i32_e64 s0, s27, v1
	v_cmp_neq_f32_e64 s1, 0, v8
	s_cmp_lt_i32 s13, s12
	v_lshlrev_b64 v[17:18], 3, v[1:2]
	s_cselect_b32 s15, -1, 0
	s_cmp_lg_u32 s25, 0
	v_lshlrev_b32_e32 v21, 3, v10
	s_waitcnt lgkmcnt(0)
	v_mul_lo_u32 v12, v2, s10
	v_mul_lo_u32 v13, v1, s11
	v_mad_u64_u32 v[3:4], null, v1, s10, 0
	v_mul_lo_u32 v2, v2, s22
	v_mul_lo_u32 v15, v1, s23
	v_mad_u64_u32 v[19:20], null, v1, s22, 0
	v_lshl_add_u32 v22, v9, 8, 0x2000
	v_add3_u32 v4, v4, v13, v12
	v_add_co_u32 v13, s2, s8, v17
	s_delay_alu instid0(VALU_DEP_1) | instskip(NEXT) | instid1(VALU_DEP_3)
	v_add_co_ci_u32_e64 v14, s2, s9, v18, s2
	v_lshlrev_b64 v[0:1], 3, v[3:4]
	v_add3_u32 v20, v20, v15, v2
	v_add_nc_u32_e32 v12, 0x2000, v11
	s_delay_alu instid0(VALU_DEP_3) | instskip(NEXT) | instid1(VALU_DEP_1)
	v_add_co_u32 v15, s2, s8, v0
	v_add_co_ci_u32_e64 v16, s2, s9, v1, s2
	s_delay_alu instid0(VALU_DEP_4) | instskip(SKIP_4) | instid1(VALU_DEP_3)
	v_lshlrev_b64 v[0:1], 3, v[19:20]
	s_cselect_b32 s8, -1, 0
	s_or_b32 s24, vcc_lo, s1
	v_add_co_u32 v17, vcc_lo, s20, v17
	v_add_co_ci_u32_e32 v18, vcc_lo, s21, v18, vcc_lo
	v_add_co_u32 v19, vcc_lo, s20, v0
	s_and_b32 s9, s3, s0
	v_add_co_ci_u32_e32 v20, vcc_lo, s21, v1, vcc_lo
	s_cmp_lg_u32 s4, 1
	s_mov_b32 s4, 0
	s_cselect_b32 s20, -1, 0
	s_branch .LBB6_18
.LBB6_17:                               ;   in Loop: Header=BB6_18 Depth=1
	s_or_b32 exec_lo, exec_lo, s1
	s_add_i32 s4, s4, 32
	s_delay_alu instid0(SALU_CYCLE_1)
	s_cmp_lt_i32 s4, s6
	s_cbranch_scc0 .LBB6_64
.LBB6_18:                               ; =>This Loop Header: Depth=1
                                        ;     Child Loop BB6_21 Depth 2
                                        ;       Child Loop BB6_22 Depth 3
                                        ;         Child Loop BB6_44 Depth 4
	v_dual_mov_b32 v23, 0 :: v_dual_add_nc_u32 v0, s4, v10
	v_mov_b32_e32 v24, 0
	s_and_not1_b32 vcc_lo, exec_lo, s15
	s_delay_alu instid0(VALU_DEP_2)
	v_cmp_gt_i32_e64 s1, s6, v0
	s_cbranch_vccnz .LBB6_53
; %bb.19:                               ;   in Loop: Header=BB6_18 Depth=1
	v_dual_mov_b32 v23, 0 :: v_dual_mov_b32 v24, 0
	s_mov_b32 s2, s13
	s_branch .LBB6_21
.LBB6_20:                               ;   in Loop: Header=BB6_21 Depth=2
	s_add_i32 s2, s2, 1
	s_delay_alu instid0(SALU_CYCLE_1)
	s_cmp_ge_i32 s2, s12
	s_cbranch_scc1 .LBB6_53
.LBB6_21:                               ;   Parent Loop BB6_18 Depth=1
                                        ; =>  This Loop Header: Depth=2
                                        ;       Child Loop BB6_22 Depth 3
                                        ;         Child Loop BB6_44 Depth 4
	s_ashr_i32 s3, s2, 31
	s_mov_b32 s25, 0
	s_lshl_b64 s[26:27], s[2:3], 2
	s_mul_i32 s3, s2, s6
	s_add_u32 s26, s16, s26
	s_addc_u32 s27, s17, s27
	v_add_nc_u32_e32 v1, s3, v0
	s_load_b32 s21, s[26:27], 0x0
	s_delay_alu instid0(VALU_DEP_1) | instskip(SKIP_2) | instid1(SALU_CYCLE_1)
	v_mul_lo_u32 v25, v1, s6
	s_waitcnt lgkmcnt(0)
	s_sub_i32 s21, s21, s5
	s_mul_i32 s21, s21, s6
.LBB6_22:                               ;   Parent Loop BB6_18 Depth=1
                                        ;     Parent Loop BB6_21 Depth=2
                                        ; =>    This Loop Header: Depth=3
                                        ;         Child Loop BB6_44 Depth 4
	s_and_b32 vcc_lo, exec_lo, s14
	s_cbranch_vccz .LBB6_28
; %bb.23:                               ;   in Loop: Header=BB6_22 Depth=3
	s_mov_b32 s27, 0
	s_mov_b32 s26, 0
                                        ; implicit-def: $vgpr1_vgpr2
	s_and_saveexec_b32 s28, s0
	s_cbranch_execz .LBB6_27
; %bb.24:                               ;   in Loop: Header=BB6_22 Depth=3
	v_add_nc_u32_e32 v3, s25, v10
	s_mov_b32 s29, exec_lo
                                        ; implicit-def: $vgpr1_vgpr2
	s_delay_alu instid0(VALU_DEP_1)
	v_cmpx_gt_i32_e64 s6, v3
	s_xor_b32 s29, exec_lo, s29
; %bb.25:                               ;   in Loop: Header=BB6_22 Depth=3
	v_add_nc_u32_e32 v3, s21, v3
	s_mov_b32 s26, exec_lo
	s_delay_alu instid0(VALU_DEP_1) | instskip(SKIP_2) | instid1(VALU_DEP_3)
	v_ashrrev_i32_e32 v4, 31, v3
	v_mul_lo_u32 v26, v3, s11
	v_mad_u64_u32 v[1:2], null, v3, s10, 0
	v_mul_lo_u32 v3, v4, s10
	s_delay_alu instid0(VALU_DEP_1) | instskip(NEXT) | instid1(VALU_DEP_1)
	v_add3_u32 v2, v2, v26, v3
	v_lshlrev_b64 v[1:2], 3, v[1:2]
	s_delay_alu instid0(VALU_DEP_1) | instskip(NEXT) | instid1(VALU_DEP_2)
	v_add_co_u32 v1, vcc_lo, v13, v1
	v_add_co_ci_u32_e32 v2, vcc_lo, v14, v2, vcc_lo
; %bb.26:                               ;   in Loop: Header=BB6_22 Depth=3
	s_or_b32 exec_lo, exec_lo, s29
	s_delay_alu instid0(SALU_CYCLE_1)
	s_and_b32 s26, s26, exec_lo
.LBB6_27:                               ;   in Loop: Header=BB6_22 Depth=3
	s_or_b32 exec_lo, exec_lo, s28
	s_delay_alu instid0(SALU_CYCLE_1)
	s_and_b32 vcc_lo, exec_lo, s27
	s_cbranch_vccnz .LBB6_29
	s_branch .LBB6_34
.LBB6_28:                               ;   in Loop: Header=BB6_22 Depth=3
	s_mov_b32 s27, -1
	s_mov_b32 s26, 0
                                        ; implicit-def: $vgpr1_vgpr2
	s_cbranch_execz .LBB6_34
.LBB6_29:                               ;   in Loop: Header=BB6_22 Depth=3
                                        ; implicit-def: $vgpr1_vgpr2
	s_and_saveexec_b32 s27, s0
	s_cbranch_execz .LBB6_33
; %bb.30:                               ;   in Loop: Header=BB6_22 Depth=3
	v_add_nc_u32_e32 v3, s25, v10
	s_mov_b32 s29, s26
	s_mov_b32 s28, exec_lo
                                        ; implicit-def: $vgpr1_vgpr2
	s_delay_alu instid0(VALU_DEP_1)
	v_cmpx_gt_i32_e64 s6, v3
; %bb.31:                               ;   in Loop: Header=BB6_22 Depth=3
	v_add_nc_u32_e32 v1, s21, v3
	s_or_b32 s29, s26, exec_lo
	s_delay_alu instid0(VALU_DEP_1) | instskip(NEXT) | instid1(VALU_DEP_1)
	v_ashrrev_i32_e32 v2, 31, v1
	v_lshlrev_b64 v[1:2], 3, v[1:2]
	s_delay_alu instid0(VALU_DEP_1) | instskip(NEXT) | instid1(VALU_DEP_2)
	v_add_co_u32 v1, vcc_lo, v15, v1
	v_add_co_ci_u32_e32 v2, vcc_lo, v16, v2, vcc_lo
; %bb.32:                               ;   in Loop: Header=BB6_22 Depth=3
	s_or_b32 exec_lo, exec_lo, s28
	s_delay_alu instid0(SALU_CYCLE_1) | instskip(SKIP_1) | instid1(SALU_CYCLE_1)
	s_and_not1_b32 s26, s26, exec_lo
	s_and_b32 s28, s29, exec_lo
	s_or_b32 s26, s26, s28
.LBB6_33:                               ;   in Loop: Header=BB6_22 Depth=3
	s_or_b32 exec_lo, exec_lo, s27
	s_mov_b32 s27, 0
.LBB6_34:                               ;   in Loop: Header=BB6_22 Depth=3
	s_delay_alu instid0(SALU_CYCLE_1)
	v_dual_mov_b32 v3, s27 :: v_dual_mov_b32 v4, s27
	s_and_saveexec_b32 s27, s26
	s_cbranch_execnz .LBB6_46
; %bb.35:                               ;   in Loop: Header=BB6_22 Depth=3
	s_or_b32 exec_lo, exec_lo, s27
	s_delay_alu instid0(SALU_CYCLE_1)
	s_and_b32 vcc_lo, exec_lo, s8
	ds_store_b64 v12, v[3:4]
	s_cbranch_vccz .LBB6_47
.LBB6_36:                               ;   in Loop: Header=BB6_22 Depth=3
	s_mov_b32 s27, 0
	s_mov_b32 s26, 0
                                        ; implicit-def: $vgpr1
	s_and_saveexec_b32 s28, s1
	s_cbranch_execz .LBB6_40
; %bb.37:                               ;   in Loop: Header=BB6_22 Depth=3
	v_add_nc_u32_e32 v2, s25, v9
	s_mov_b32 s29, exec_lo
                                        ; implicit-def: $vgpr1
	s_delay_alu instid0(VALU_DEP_1)
	v_cmpx_gt_i32_e64 s6, v2
	s_xor_b32 s29, exec_lo, s29
; %bb.38:                               ;   in Loop: Header=BB6_22 Depth=3
	v_add_nc_u32_e32 v3, s3, v2
	s_mov_b32 s26, exec_lo
	s_delay_alu instid0(VALU_DEP_1)
	v_mad_u64_u32 v[1:2], null, v3, s6, v[0:1]
; %bb.39:                               ;   in Loop: Header=BB6_22 Depth=3
	s_or_b32 exec_lo, exec_lo, s29
	s_delay_alu instid0(SALU_CYCLE_1)
	s_and_b32 s26, s26, exec_lo
.LBB6_40:                               ;   in Loop: Header=BB6_22 Depth=3
	s_or_b32 exec_lo, exec_lo, s28
	s_delay_alu instid0(SALU_CYCLE_1)
	s_and_b32 vcc_lo, exec_lo, s27
	s_cbranch_vccnz .LBB6_48
.LBB6_41:                               ;   in Loop: Header=BB6_22 Depth=3
	v_dual_mov_b32 v2, s27 :: v_dual_mov_b32 v3, s27
	s_and_saveexec_b32 s27, s26
	s_cbranch_execz .LBB6_43
.LBB6_42:                               ;   in Loop: Header=BB6_22 Depth=3
	v_ashrrev_i32_e32 v2, 31, v1
	s_delay_alu instid0(VALU_DEP_1) | instskip(NEXT) | instid1(VALU_DEP_1)
	v_lshlrev_b64 v[1:2], 3, v[1:2]
	v_add_co_u32 v1, vcc_lo, s18, v1
	s_delay_alu instid0(VALU_DEP_2)
	v_add_co_ci_u32_e32 v2, vcc_lo, s19, v2, vcc_lo
	global_load_b64 v[2:3], v[1:2], off
.LBB6_43:                               ;   in Loop: Header=BB6_22 Depth=3
	s_or_b32 exec_lo, exec_lo, s27
	v_mov_b32_e32 v1, v21
	s_mov_b32 s26, 0
	s_waitcnt vmcnt(0)
	ds_store_b64 v11, v[2:3]
	s_waitcnt lgkmcnt(0)
	s_waitcnt_vscnt null, 0x0
	s_barrier
	buffer_gl0_inv
	s_set_inst_prefetch_distance 0x1
	.p2align	6
.LBB6_44:                               ;   Parent Loop BB6_18 Depth=1
                                        ;     Parent Loop BB6_21 Depth=2
                                        ;       Parent Loop BB6_22 Depth=3
                                        ; =>      This Inner Loop Header: Depth=4
	v_add_nc_u32_e32 v2, s26, v22
	s_add_i32 s26, s26, 32
	ds_load_2addr_b64 v[26:29], v1 offset1:32
	ds_load_b128 v[30:33], v2
	ds_load_2addr_b64 v[34:37], v1 offset0:64 offset1:96
	ds_load_b128 v[38:41], v2 offset:16
	v_add_nc_u32_e32 v1, 0x400, v1
	s_cmpk_eq_i32 s26, 0x100
	s_waitcnt lgkmcnt(2)
	v_fmac_f32_e32 v23, v27, v30
	s_delay_alu instid0(VALU_DEP_1) | instskip(NEXT) | instid1(VALU_DEP_1)
	v_fmac_f32_e32 v23, v26, v31
	v_dual_fmac_f32 v24, v26, v30 :: v_dual_fmac_f32 v23, v29, v32
	s_delay_alu instid0(VALU_DEP_1) | instskip(NEXT) | instid1(VALU_DEP_1)
	v_fma_f32 v2, -v27, v31, v24
	v_fmac_f32_e32 v2, v28, v32
	s_delay_alu instid0(VALU_DEP_1) | instskip(SKIP_1) | instid1(VALU_DEP_1)
	v_fma_f32 v2, -v29, v33, v2
	s_waitcnt lgkmcnt(0)
	v_dual_fmac_f32 v23, v28, v33 :: v_dual_fmac_f32 v2, v34, v38
	s_delay_alu instid0(VALU_DEP_1) | instskip(NEXT) | instid1(VALU_DEP_1)
	v_fma_f32 v2, -v35, v39, v2
	v_dual_fmac_f32 v23, v35, v38 :: v_dual_fmac_f32 v2, v36, v40
	s_delay_alu instid0(VALU_DEP_1) | instskip(NEXT) | instid1(VALU_DEP_2)
	v_fmac_f32_e32 v23, v34, v39
	v_fma_f32 v24, -v37, v41, v2
	s_delay_alu instid0(VALU_DEP_2) | instskip(NEXT) | instid1(VALU_DEP_1)
	v_fmac_f32_e32 v23, v37, v40
	v_fmac_f32_e32 v23, v36, v41
	s_cbranch_scc0 .LBB6_44
; %bb.45:                               ;   in Loop: Header=BB6_22 Depth=3
	s_set_inst_prefetch_distance 0x2
	s_add_i32 s25, s25, 32
	s_delay_alu instid0(SALU_CYCLE_1)
	s_cmp_ge_i32 s25, s6
	s_barrier
	buffer_gl0_inv
	s_cbranch_scc0 .LBB6_22
	s_branch .LBB6_20
.LBB6_46:                               ;   in Loop: Header=BB6_22 Depth=3
	global_load_b64 v[3:4], v[1:2], off
	s_or_b32 exec_lo, exec_lo, s27
	s_delay_alu instid0(SALU_CYCLE_1)
	s_and_b32 vcc_lo, exec_lo, s8
	s_waitcnt vmcnt(0)
	ds_store_b64 v12, v[3:4]
	s_cbranch_vccnz .LBB6_36
.LBB6_47:                               ;   in Loop: Header=BB6_22 Depth=3
	s_mov_b32 s27, -1
	s_mov_b32 s26, 0
                                        ; implicit-def: $vgpr1
	s_cbranch_execz .LBB6_41
.LBB6_48:                               ;   in Loop: Header=BB6_22 Depth=3
                                        ; implicit-def: $vgpr1
	s_and_saveexec_b32 s27, s1
	s_cbranch_execz .LBB6_52
; %bb.49:                               ;   in Loop: Header=BB6_22 Depth=3
	v_add_nc_u32_e32 v2, s25, v9
	s_mov_b32 s28, s26
	s_mov_b32 s29, exec_lo
                                        ; implicit-def: $vgpr1
	s_delay_alu instid0(VALU_DEP_1)
	v_cmpx_gt_i32_e64 s6, v2
; %bb.50:                               ;   in Loop: Header=BB6_22 Depth=3
	v_add_nc_u32_e32 v1, v2, v25
	s_or_b32 s28, s26, exec_lo
; %bb.51:                               ;   in Loop: Header=BB6_22 Depth=3
	s_or_b32 exec_lo, exec_lo, s29
	s_delay_alu instid0(SALU_CYCLE_1) | instskip(SKIP_1) | instid1(SALU_CYCLE_1)
	s_and_not1_b32 s26, s26, exec_lo
	s_and_b32 s28, s28, exec_lo
	s_or_b32 s26, s26, s28
.LBB6_52:                               ;   in Loop: Header=BB6_22 Depth=3
	s_or_b32 exec_lo, exec_lo, s27
	s_mov_b32 s27, 0
	s_delay_alu instid0(SALU_CYCLE_1)
	v_dual_mov_b32 v2, s27 :: v_dual_mov_b32 v3, s27
	s_and_saveexec_b32 s27, s26
	s_cbranch_execnz .LBB6_42
	s_branch .LBB6_43
.LBB6_53:                               ;   in Loop: Header=BB6_18 Depth=1
	v_cmp_gt_i32_e32 vcc_lo, s6, v0
	s_and_b32 s2, s9, vcc_lo
	s_delay_alu instid0(SALU_CYCLE_1)
	s_and_saveexec_b32 s1, s2
	s_cbranch_execz .LBB6_17
; %bb.54:                               ;   in Loop: Header=BB6_18 Depth=1
	v_add_nc_u32_e32 v0, s7, v0
	s_delay_alu instid0(VALU_DEP_1) | instskip(SKIP_1) | instid1(SALU_CYCLE_1)
	v_ashrrev_i32_e32 v1, 31, v0
	s_and_saveexec_b32 s2, s24
	s_xor_b32 s2, exec_lo, s2
	s_cbranch_execz .LBB6_59
; %bb.55:                               ;   in Loop: Header=BB6_18 Depth=1
	s_and_b32 vcc_lo, exec_lo, s20
	s_mov_b32 s3, -1
	s_cbranch_vccz .LBB6_57
; %bb.56:                               ;   in Loop: Header=BB6_18 Depth=1
	v_mul_lo_u32 v4, v1, s22
	v_mul_lo_u32 v25, v0, s23
	v_mad_u64_u32 v[2:3], null, v0, s22, 0
	v_mul_f32_e32 v28, v23, v5
	s_mov_b32 s3, 0
	s_delay_alu instid0(VALU_DEP_1) | instskip(NEXT) | instid1(VALU_DEP_3)
	v_fmac_f32_e32 v28, v6, v24
	v_add3_u32 v3, v3, v25, v4
	v_mul_f32_e64 v4, v23, -v6
	s_delay_alu instid0(VALU_DEP_2) | instskip(NEXT) | instid1(VALU_DEP_2)
	v_lshlrev_b64 v[2:3], 3, v[2:3]
	v_fmac_f32_e32 v4, v5, v24
	s_delay_alu instid0(VALU_DEP_2) | instskip(NEXT) | instid1(VALU_DEP_3)
	v_add_co_u32 v2, vcc_lo, v17, v2
	v_add_co_ci_u32_e32 v3, vcc_lo, v18, v3, vcc_lo
	global_load_b64 v[25:26], v[2:3], off
	s_waitcnt vmcnt(0)
	v_fmac_f32_e32 v4, v7, v25
	v_fmac_f32_e32 v28, v8, v25
	s_delay_alu instid0(VALU_DEP_2) | instskip(NEXT) | instid1(VALU_DEP_2)
	v_fma_f32 v27, -v8, v26, v4
	v_fmac_f32_e32 v28, v7, v26
	global_store_b64 v[2:3], v[27:28], off
.LBB6_57:                               ;   in Loop: Header=BB6_18 Depth=1
	s_and_not1_b32 vcc_lo, exec_lo, s3
	s_cbranch_vccnz .LBB6_59
; %bb.58:                               ;   in Loop: Header=BB6_18 Depth=1
	v_lshlrev_b64 v[0:1], 3, v[0:1]
	v_mul_f32_e64 v4, v23, -v6
	v_mul_f32_e32 v25, v23, v5
                                        ; implicit-def: $vgpr23
	s_delay_alu instid0(VALU_DEP_2) | instskip(NEXT) | instid1(VALU_DEP_4)
	v_fmac_f32_e32 v4, v5, v24
	v_add_co_u32 v0, vcc_lo, v19, v0
	v_add_co_ci_u32_e32 v1, vcc_lo, v20, v1, vcc_lo
	global_load_b64 v[2:3], v[0:1], off
	s_waitcnt vmcnt(0)
	v_dual_fmac_f32 v25, v6, v24 :: v_dual_fmac_f32 v4, v7, v2
	s_delay_alu instid0(VALU_DEP_1) | instskip(NEXT) | instid1(VALU_DEP_2)
	v_fmac_f32_e32 v25, v8, v2
	v_fma_f32 v24, -v8, v3, v4
	s_delay_alu instid0(VALU_DEP_2)
	v_fmac_f32_e32 v25, v7, v3
	global_store_b64 v[0:1], v[24:25], off
                                        ; implicit-def: $vgpr24
                                        ; implicit-def: $vgpr0
.LBB6_59:                               ;   in Loop: Header=BB6_18 Depth=1
	s_and_not1_saveexec_b32 s2, s2
	s_cbranch_execz .LBB6_17
; %bb.60:                               ;   in Loop: Header=BB6_18 Depth=1
	v_mul_f32_e64 v2, v23, -v6
	v_mul_f32_e32 v3, v23, v5
	s_and_b32 vcc_lo, exec_lo, s20
	s_mov_b32 s2, -1
	s_delay_alu instid0(VALU_DEP_2) | instskip(NEXT) | instid1(VALU_DEP_2)
	v_fmac_f32_e32 v2, v5, v24
	v_fmac_f32_e32 v3, v6, v24
	s_cbranch_vccz .LBB6_62
; %bb.61:                               ;   in Loop: Header=BB6_18 Depth=1
	v_mul_lo_u32 v4, v1, s22
	v_mul_lo_u32 v25, v0, s23
	v_mad_u64_u32 v[23:24], null, v0, s22, 0
	s_mov_b32 s2, 0
	s_delay_alu instid0(VALU_DEP_1) | instskip(NEXT) | instid1(VALU_DEP_1)
	v_add3_u32 v24, v24, v25, v4
	v_lshlrev_b64 v[23:24], 3, v[23:24]
	s_delay_alu instid0(VALU_DEP_1) | instskip(NEXT) | instid1(VALU_DEP_2)
	v_add_co_u32 v23, vcc_lo, v17, v23
	v_add_co_ci_u32_e32 v24, vcc_lo, v18, v24, vcc_lo
	global_store_b64 v[23:24], v[2:3], off
.LBB6_62:                               ;   in Loop: Header=BB6_18 Depth=1
	s_and_not1_b32 vcc_lo, exec_lo, s2
	s_cbranch_vccnz .LBB6_17
; %bb.63:                               ;   in Loop: Header=BB6_18 Depth=1
	v_lshlrev_b64 v[0:1], 3, v[0:1]
	s_delay_alu instid0(VALU_DEP_1) | instskip(NEXT) | instid1(VALU_DEP_2)
	v_add_co_u32 v0, vcc_lo, v19, v0
	v_add_co_ci_u32_e32 v1, vcc_lo, v20, v1, vcc_lo
	global_store_b64 v[0:1], v[2:3], off
	s_branch .LBB6_17
.LBB6_64:
	s_nop 0
	s_sendmsg sendmsg(MSG_DEALLOC_VGPRS)
	s_endpgm
	.section	.rodata,"a",@progbits
	.p2align	6, 0x0
	.amdhsa_kernel _ZN9rocsparseL29bsrmm_general_blockdim_kernelILj32ELj32Eii21rocsparse_complex_numIfES2_S2_S2_EEvb20rocsparse_direction_T2_S4_llNS_24const_host_device_scalarIT6_EEPKT1_PKS4_PKT3_S4_PKT4_llS7_PT5_ll16rocsparse_order_21rocsparse_index_base_b
		.amdhsa_group_segment_fixed_size 16384
		.amdhsa_private_segment_fixed_size 0
		.amdhsa_kernarg_size 140
		.amdhsa_user_sgpr_count 14
		.amdhsa_user_sgpr_dispatch_ptr 0
		.amdhsa_user_sgpr_queue_ptr 0
		.amdhsa_user_sgpr_kernarg_segment_ptr 1
		.amdhsa_user_sgpr_dispatch_id 0
		.amdhsa_user_sgpr_private_segment_size 0
		.amdhsa_wavefront_size32 1
		.amdhsa_uses_dynamic_stack 0
		.amdhsa_enable_private_segment 0
		.amdhsa_system_sgpr_workgroup_id_x 1
		.amdhsa_system_sgpr_workgroup_id_y 1
		.amdhsa_system_sgpr_workgroup_id_z 0
		.amdhsa_system_sgpr_workgroup_info 0
		.amdhsa_system_vgpr_workitem_id 1
		.amdhsa_next_free_vgpr 42
		.amdhsa_next_free_sgpr 30
		.amdhsa_reserve_vcc 1
		.amdhsa_float_round_mode_32 0
		.amdhsa_float_round_mode_16_64 0
		.amdhsa_float_denorm_mode_32 3
		.amdhsa_float_denorm_mode_16_64 3
		.amdhsa_dx10_clamp 1
		.amdhsa_ieee_mode 1
		.amdhsa_fp16_overflow 0
		.amdhsa_workgroup_processor_mode 1
		.amdhsa_memory_ordered 1
		.amdhsa_forward_progress 0
		.amdhsa_shared_vgpr_count 0
		.amdhsa_exception_fp_ieee_invalid_op 0
		.amdhsa_exception_fp_denorm_src 0
		.amdhsa_exception_fp_ieee_div_zero 0
		.amdhsa_exception_fp_ieee_overflow 0
		.amdhsa_exception_fp_ieee_underflow 0
		.amdhsa_exception_fp_ieee_inexact 0
		.amdhsa_exception_int_div_zero 0
	.end_amdhsa_kernel
	.section	.text._ZN9rocsparseL29bsrmm_general_blockdim_kernelILj32ELj32Eii21rocsparse_complex_numIfES2_S2_S2_EEvb20rocsparse_direction_T2_S4_llNS_24const_host_device_scalarIT6_EEPKT1_PKS4_PKT3_S4_PKT4_llS7_PT5_ll16rocsparse_order_21rocsparse_index_base_b,"axG",@progbits,_ZN9rocsparseL29bsrmm_general_blockdim_kernelILj32ELj32Eii21rocsparse_complex_numIfES2_S2_S2_EEvb20rocsparse_direction_T2_S4_llNS_24const_host_device_scalarIT6_EEPKT1_PKS4_PKT3_S4_PKT4_llS7_PT5_ll16rocsparse_order_21rocsparse_index_base_b,comdat
.Lfunc_end6:
	.size	_ZN9rocsparseL29bsrmm_general_blockdim_kernelILj32ELj32Eii21rocsparse_complex_numIfES2_S2_S2_EEvb20rocsparse_direction_T2_S4_llNS_24const_host_device_scalarIT6_EEPKT1_PKS4_PKT3_S4_PKT4_llS7_PT5_ll16rocsparse_order_21rocsparse_index_base_b, .Lfunc_end6-_ZN9rocsparseL29bsrmm_general_blockdim_kernelILj32ELj32Eii21rocsparse_complex_numIfES2_S2_S2_EEvb20rocsparse_direction_T2_S4_llNS_24const_host_device_scalarIT6_EEPKT1_PKS4_PKT3_S4_PKT4_llS7_PT5_ll16rocsparse_order_21rocsparse_index_base_b
                                        ; -- End function
	.section	.AMDGPU.csdata,"",@progbits
; Kernel info:
; codeLenInByte = 2252
; NumSgprs: 32
; NumVgprs: 42
; ScratchSize: 0
; MemoryBound: 0
; FloatMode: 240
; IeeeMode: 1
; LDSByteSize: 16384 bytes/workgroup (compile time only)
; SGPRBlocks: 3
; VGPRBlocks: 5
; NumSGPRsForWavesPerEU: 32
; NumVGPRsForWavesPerEU: 42
; Occupancy: 16
; WaveLimiterHint : 1
; COMPUTE_PGM_RSRC2:SCRATCH_EN: 0
; COMPUTE_PGM_RSRC2:USER_SGPR: 14
; COMPUTE_PGM_RSRC2:TRAP_HANDLER: 0
; COMPUTE_PGM_RSRC2:TGID_X_EN: 1
; COMPUTE_PGM_RSRC2:TGID_Y_EN: 1
; COMPUTE_PGM_RSRC2:TGID_Z_EN: 0
; COMPUTE_PGM_RSRC2:TIDIG_COMP_CNT: 1
	.section	.text._ZN9rocsparseL29bsrmm_general_blockdim_kernelILj32ELj32Eli21rocsparse_complex_numIfES2_S2_S2_EEvb20rocsparse_direction_T2_S4_llNS_24const_host_device_scalarIT6_EEPKT1_PKS4_PKT3_S4_PKT4_llS7_PT5_ll16rocsparse_order_21rocsparse_index_base_b,"axG",@progbits,_ZN9rocsparseL29bsrmm_general_blockdim_kernelILj32ELj32Eli21rocsparse_complex_numIfES2_S2_S2_EEvb20rocsparse_direction_T2_S4_llNS_24const_host_device_scalarIT6_EEPKT1_PKS4_PKT3_S4_PKT4_llS7_PT5_ll16rocsparse_order_21rocsparse_index_base_b,comdat
	.globl	_ZN9rocsparseL29bsrmm_general_blockdim_kernelILj32ELj32Eli21rocsparse_complex_numIfES2_S2_S2_EEvb20rocsparse_direction_T2_S4_llNS_24const_host_device_scalarIT6_EEPKT1_PKS4_PKT3_S4_PKT4_llS7_PT5_ll16rocsparse_order_21rocsparse_index_base_b ; -- Begin function _ZN9rocsparseL29bsrmm_general_blockdim_kernelILj32ELj32Eli21rocsparse_complex_numIfES2_S2_S2_EEvb20rocsparse_direction_T2_S4_llNS_24const_host_device_scalarIT6_EEPKT1_PKS4_PKT3_S4_PKT4_llS7_PT5_ll16rocsparse_order_21rocsparse_index_base_b
	.p2align	8
	.type	_ZN9rocsparseL29bsrmm_general_blockdim_kernelILj32ELj32Eli21rocsparse_complex_numIfES2_S2_S2_EEvb20rocsparse_direction_T2_S4_llNS_24const_host_device_scalarIT6_EEPKT1_PKS4_PKT3_S4_PKT4_llS7_PT5_ll16rocsparse_order_21rocsparse_index_base_b,@function
_ZN9rocsparseL29bsrmm_general_blockdim_kernelILj32ELj32Eli21rocsparse_complex_numIfES2_S2_S2_EEvb20rocsparse_direction_T2_S4_llNS_24const_host_device_scalarIT6_EEPKT1_PKS4_PKT3_S4_PKT4_llS7_PT5_ll16rocsparse_order_21rocsparse_index_base_b: ; @_ZN9rocsparseL29bsrmm_general_blockdim_kernelILj32ELj32Eli21rocsparse_complex_numIfES2_S2_S2_EEvb20rocsparse_direction_T2_S4_llNS_24const_host_device_scalarIT6_EEPKT1_PKS4_PKT3_S4_PKT4_llS7_PT5_ll16rocsparse_order_21rocsparse_index_base_b
; %bb.0:
	s_clause 0x2
	s_load_b128 s[4:7], s[0:1], 0x80
	s_load_b64 s[10:11], s[0:1], 0x20
	s_load_b64 s[8:9], s[0:1], 0x60
	s_mov_b32 s2, s15
	s_waitcnt lgkmcnt(0)
	s_bitcmp1_b32 s6, 0
	v_mov_b32_e32 v5, s10
	s_cselect_b32 s3, -1, 0
	s_delay_alu instid0(SALU_CYCLE_1)
	s_and_b32 vcc_lo, exec_lo, s3
	s_xor_b32 s3, s3, -1
	s_cbranch_vccz .LBB7_11
; %bb.1:
	v_cndmask_b32_e64 v1, 0, 1, s3
	v_mov_b32_e32 v6, s11
	s_and_not1_b32 vcc_lo, exec_lo, s3
	s_cbranch_vccz .LBB7_12
.LBB7_2:
	s_delay_alu instid0(VALU_DEP_2)
	v_cmp_ne_u32_e32 vcc_lo, 1, v1
	v_mov_b32_e32 v7, s8
	s_cbranch_vccz .LBB7_13
.LBB7_3:
	v_cmp_ne_u32_e32 vcc_lo, 1, v1
	v_mov_b32_e32 v8, s9
	s_cbranch_vccnz .LBB7_5
.LBB7_4:
	v_dual_mov_b32 v1, s8 :: v_dual_mov_b32 v2, s9
	flat_load_b32 v8, v[1:2] offset:4
.LBB7_5:
	s_waitcnt vmcnt(0) lgkmcnt(0)
	v_cmp_eq_f32_e32 vcc_lo, 0, v5
	v_cmp_eq_f32_e64 s3, 0, v6
	s_delay_alu instid0(VALU_DEP_1)
	s_and_b32 s7, vcc_lo, s3
	s_mov_b32 s3, -1
	s_and_saveexec_b32 s6, s7
; %bb.6:
	v_cmp_neq_f32_e32 vcc_lo, 1.0, v7
	v_cmp_neq_f32_e64 s3, 0, v8
	s_delay_alu instid0(VALU_DEP_1) | instskip(NEXT) | instid1(SALU_CYCLE_1)
	s_or_b32 s3, vcc_lo, s3
	s_or_not1_b32 s3, s3, exec_lo
; %bb.7:
	s_or_b32 exec_lo, exec_lo, s6
	s_and_saveexec_b32 s6, s3
	s_cbranch_execz .LBB7_60
; %bb.8:
	s_clause 0x1
	s_load_b128 s[24:27], s[0:1], 0x0
	s_load_b64 s[8:9], s[0:1], 0x28
	s_mov_b64 s[6:7], 0
	s_mov_b64 s[12:13], 0
	s_waitcnt lgkmcnt(0)
	s_cmp_lt_i32 s14, s26
	s_cselect_b32 s3, -1, 0
	s_cmp_ge_i32 s14, s26
	s_cbranch_scc0 .LBB7_14
; %bb.9:
	s_and_not1_b32 vcc_lo, exec_lo, s3
	s_cbranch_vccz .LBB7_15
.LBB7_10:
	s_load_b32 s15, s[0:1], 0x40
	s_waitcnt lgkmcnt(0)
	s_cmp_lt_i32 s15, 1
	s_cbranch_scc0 .LBB7_16
	s_branch .LBB7_60
.LBB7_11:
	v_dual_mov_b32 v1, s10 :: v_dual_mov_b32 v2, s11
	flat_load_b32 v5, v[1:2]
	v_cndmask_b32_e64 v1, 0, 1, s3
	v_mov_b32_e32 v6, s11
	s_and_not1_b32 vcc_lo, exec_lo, s3
	s_cbranch_vccnz .LBB7_2
.LBB7_12:
	v_dual_mov_b32 v2, s10 :: v_dual_mov_b32 v3, s11
	flat_load_b32 v6, v[2:3] offset:4
	v_cmp_ne_u32_e32 vcc_lo, 1, v1
	v_mov_b32_e32 v7, s8
	s_cbranch_vccnz .LBB7_3
.LBB7_13:
	v_dual_mov_b32 v2, s8 :: v_dual_mov_b32 v3, s9
	flat_load_b32 v7, v[2:3]
	v_cmp_ne_u32_e32 vcc_lo, 1, v1
	v_mov_b32_e32 v8, s9
	s_cbranch_vccz .LBB7_4
	s_branch .LBB7_5
.LBB7_14:
	s_ashr_i32 s15, s14, 31
	s_delay_alu instid0(SALU_CYCLE_1) | instskip(NEXT) | instid1(SALU_CYCLE_1)
	s_lshl_b64 s[10:11], s[14:15], 3
	s_add_u32 s10, s8, s10
	s_addc_u32 s11, s9, s11
	s_load_b64 s[10:11], s[10:11], 0x0
	s_waitcnt lgkmcnt(0)
	s_sub_u32 s12, s10, s5
	s_subb_u32 s13, s11, 0
	s_and_not1_b32 vcc_lo, exec_lo, s3
	s_cbranch_vccnz .LBB7_10
.LBB7_15:
	s_ashr_i32 s15, s14, 31
	s_delay_alu instid0(SALU_CYCLE_1) | instskip(NEXT) | instid1(SALU_CYCLE_1)
	s_lshl_b64 s[6:7], s[14:15], 3
	s_add_u32 s6, s8, s6
	s_addc_u32 s7, s9, s7
	s_load_b64 s[6:7], s[6:7], 0x8
	s_waitcnt lgkmcnt(0)
	s_sub_u32 s6, s6, s5
	s_subb_u32 s7, s7, 0
	s_load_b32 s15, s[0:1], 0x40
	s_waitcnt lgkmcnt(0)
	s_cmp_lt_i32 s15, 1
	s_cbranch_scc1 .LBB7_60
.LBB7_16:
	s_load_b128 s[8:11], s[0:1], 0x48
	v_bfe_u32 v9, v0, 10, 10
	s_clause 0x1
	s_load_b128 s[16:19], s[0:1], 0x30
	s_load_b128 s[20:23], s[0:1], 0x68
	v_and_b32_e32 v10, 0x3ff, v0
	s_bitcmp1_b32 s24, 0
	v_cmp_neq_f32_e32 vcc_lo, 0, v7
	v_lshl_add_u32 v1, s2, 5, v9
	v_lshlrev_b32_e32 v0, 5, v9
	s_cselect_b32 s0, -1, 0
	v_cmp_neq_f32_e64 s1, 0, v8
	s_xor_b32 s26, s0, -1
	v_ashrrev_i32_e32 v2, 31, v1
	v_add_lshl_u32 v11, v0, v10, 3
	v_cmp_gt_i32_e64 s0, s27, v1
	s_cmp_lg_u32 s25, 0
	v_lshlrev_b32_e32 v21, 3, v10
	v_lshlrev_b64 v[17:18], 3, v[1:2]
	s_cselect_b32 s25, -1, 0
	v_lshl_add_u32 v22, v9, 8, 0x2000
	s_mul_i32 s14, s14, s15
	s_waitcnt lgkmcnt(0)
	v_mul_lo_u32 v12, v2, s10
	v_mul_lo_u32 v13, v1, s11
	v_mad_u64_u32 v[3:4], null, v1, s10, 0
	v_mul_lo_u32 v2, v2, s22
	v_mul_lo_u32 v15, v1, s23
	v_mad_u64_u32 v[19:20], null, v1, s22, 0
	s_mov_b32 s24, 0
	s_delay_alu instid0(VALU_DEP_4) | instskip(SKIP_1) | instid1(VALU_DEP_1)
	v_add3_u32 v4, v4, v13, v12
	v_add_co_u32 v13, s2, s8, v17
	v_add_co_ci_u32_e64 v14, s2, s9, v18, s2
	s_delay_alu instid0(VALU_DEP_3) | instskip(SKIP_2) | instid1(VALU_DEP_3)
	v_lshlrev_b64 v[0:1], 3, v[3:4]
	v_add3_u32 v20, v20, v15, v2
	v_add_nc_u32_e32 v12, 0x2000, v11
	v_add_co_u32 v15, s2, s8, v0
	s_delay_alu instid0(VALU_DEP_1) | instskip(NEXT) | instid1(VALU_DEP_4)
	v_add_co_ci_u32_e64 v16, s2, s9, v1, s2
	v_lshlrev_b64 v[0:1], 3, v[19:20]
	s_or_b32 s9, vcc_lo, s1
	v_add_co_u32 v17, vcc_lo, s20, v17
	v_add_co_ci_u32_e32 v18, vcc_lo, s21, v18, vcc_lo
	s_delay_alu instid0(VALU_DEP_3)
	v_add_co_u32 v19, vcc_lo, s20, v0
	v_cmp_lt_i64_e64 s20, s[12:13], s[6:7]
	s_and_b32 s8, s3, s0
	v_add_co_ci_u32_e32 v20, vcc_lo, s21, v1, vcc_lo
	s_cmp_lg_u32 s4, 1
	s_mul_i32 s4, s15, s15
	s_cselect_b32 s21, -1, 0
	s_branch .LBB7_18
.LBB7_17:                               ;   in Loop: Header=BB7_18 Depth=1
	s_or_b32 exec_lo, exec_lo, s1
	s_add_i32 s24, s24, 32
	s_delay_alu instid0(SALU_CYCLE_1)
	s_cmp_lt_i32 s24, s15
	s_cbranch_scc0 .LBB7_60
.LBB7_18:                               ; =>This Loop Header: Depth=1
                                        ;     Child Loop BB7_21 Depth 2
                                        ;       Child Loop BB7_22 Depth 3
                                        ;         Child Loop BB7_45 Depth 4
	v_dual_mov_b32 v24, 0 :: v_dual_add_nc_u32 v25, s24, v10
	v_mov_b32_e32 v23, 0
	s_and_not1_b32 vcc_lo, exec_lo, s20
	s_delay_alu instid0(VALU_DEP_2)
	v_cmp_gt_i32_e64 s1, s15, v25
	s_cbranch_vccnz .LBB7_49
; %bb.19:                               ;   in Loop: Header=BB7_18 Depth=1
	v_mul_lo_u32 v26, v25, s15
	v_dual_mov_b32 v23, 0 :: v_dual_mov_b32 v24, 0
	s_mov_b64 s[2:3], s[12:13]
	s_branch .LBB7_21
.LBB7_20:                               ;   in Loop: Header=BB7_21 Depth=2
	s_add_u32 s2, s2, 1
	s_addc_u32 s3, s3, 0
	s_delay_alu instid0(SALU_CYCLE_1) | instskip(NEXT) | instid1(VALU_DEP_1)
	v_cmp_ge_i64_e64 s27, s[2:3], s[6:7]
	s_and_b32 vcc_lo, exec_lo, s27
	s_cbranch_vccnz .LBB7_49
.LBB7_21:                               ;   Parent Loop BB7_18 Depth=1
                                        ; =>  This Loop Header: Depth=2
                                        ;       Child Loop BB7_22 Depth 3
                                        ;         Child Loop BB7_45 Depth 4
	s_lshl_b64 s[28:29], s[2:3], 2
	s_mul_hi_u32 s30, s2, s4
	s_add_u32 s28, s16, s28
	s_addc_u32 s29, s17, s29
	s_load_b32 s27, s[28:29], 0x0
	s_mul_i32 s29, s3, s4
	s_mul_i32 s28, s2, s4
	s_add_i32 s29, s30, s29
	s_delay_alu instid0(SALU_CYCLE_1)
	s_lshl_b64 s[28:29], s[28:29], 3
	s_waitcnt lgkmcnt(0)
	s_sub_i32 s30, s27, s5
	s_add_u32 s27, s18, s28
	s_mul_i32 s28, s30, s15
	s_addc_u32 s29, s19, s29
	s_mov_b32 s30, 0
.LBB7_22:                               ;   Parent Loop BB7_18 Depth=1
                                        ;     Parent Loop BB7_21 Depth=2
                                        ; =>    This Loop Header: Depth=3
                                        ;         Child Loop BB7_45 Depth 4
	s_and_b32 vcc_lo, exec_lo, s26
	s_cbranch_vccz .LBB7_28
; %bb.23:                               ;   in Loop: Header=BB7_22 Depth=3
	s_mov_b32 s33, 0
	s_mov_b32 s31, 0
                                        ; implicit-def: $vgpr0_vgpr1
	s_and_saveexec_b32 s34, s0
	s_cbranch_execz .LBB7_27
; %bb.24:                               ;   in Loop: Header=BB7_22 Depth=3
	v_add_nc_u32_e32 v2, s30, v10
	s_mov_b32 s35, exec_lo
                                        ; implicit-def: $vgpr0_vgpr1
	s_delay_alu instid0(VALU_DEP_1)
	v_cmpx_gt_i32_e64 s15, v2
	s_xor_b32 s35, exec_lo, s35
; %bb.25:                               ;   in Loop: Header=BB7_22 Depth=3
	v_add_nc_u32_e32 v2, s28, v2
	s_mov_b32 s31, exec_lo
	s_delay_alu instid0(VALU_DEP_1) | instskip(SKIP_2) | instid1(VALU_DEP_3)
	v_ashrrev_i32_e32 v3, 31, v2
	v_mul_lo_u32 v4, v2, s11
	v_mad_u64_u32 v[0:1], null, v2, s10, 0
	v_mul_lo_u32 v2, v3, s10
	s_delay_alu instid0(VALU_DEP_1) | instskip(NEXT) | instid1(VALU_DEP_1)
	v_add3_u32 v1, v1, v4, v2
	v_lshlrev_b64 v[0:1], 3, v[0:1]
	s_delay_alu instid0(VALU_DEP_1) | instskip(NEXT) | instid1(VALU_DEP_2)
	v_add_co_u32 v0, vcc_lo, v13, v0
	v_add_co_ci_u32_e32 v1, vcc_lo, v14, v1, vcc_lo
; %bb.26:                               ;   in Loop: Header=BB7_22 Depth=3
	s_or_b32 exec_lo, exec_lo, s35
	s_delay_alu instid0(SALU_CYCLE_1)
	s_and_b32 s31, s31, exec_lo
.LBB7_27:                               ;   in Loop: Header=BB7_22 Depth=3
	s_or_b32 exec_lo, exec_lo, s34
	s_delay_alu instid0(SALU_CYCLE_1)
	s_and_b32 vcc_lo, exec_lo, s33
	s_cbranch_vccnz .LBB7_29
	s_branch .LBB7_34
.LBB7_28:                               ;   in Loop: Header=BB7_22 Depth=3
	s_mov_b32 s33, -1
	s_mov_b32 s31, 0
                                        ; implicit-def: $vgpr0_vgpr1
	s_cbranch_execz .LBB7_34
.LBB7_29:                               ;   in Loop: Header=BB7_22 Depth=3
                                        ; implicit-def: $vgpr0_vgpr1
	s_and_saveexec_b32 s33, s0
	s_cbranch_execz .LBB7_33
; %bb.30:                               ;   in Loop: Header=BB7_22 Depth=3
	v_add_nc_u32_e32 v2, s30, v10
	s_mov_b32 s35, s31
	s_mov_b32 s34, exec_lo
                                        ; implicit-def: $vgpr0_vgpr1
	s_delay_alu instid0(VALU_DEP_1)
	v_cmpx_gt_i32_e64 s15, v2
; %bb.31:                               ;   in Loop: Header=BB7_22 Depth=3
	v_add_nc_u32_e32 v0, s28, v2
	s_or_b32 s35, s31, exec_lo
	s_delay_alu instid0(VALU_DEP_1) | instskip(NEXT) | instid1(VALU_DEP_1)
	v_ashrrev_i32_e32 v1, 31, v0
	v_lshlrev_b64 v[0:1], 3, v[0:1]
	s_delay_alu instid0(VALU_DEP_1) | instskip(NEXT) | instid1(VALU_DEP_2)
	v_add_co_u32 v0, vcc_lo, v15, v0
	v_add_co_ci_u32_e32 v1, vcc_lo, v16, v1, vcc_lo
; %bb.32:                               ;   in Loop: Header=BB7_22 Depth=3
	s_or_b32 exec_lo, exec_lo, s34
	s_delay_alu instid0(SALU_CYCLE_1) | instskip(SKIP_1) | instid1(SALU_CYCLE_1)
	s_and_not1_b32 s31, s31, exec_lo
	s_and_b32 s34, s35, exec_lo
	s_or_b32 s31, s31, s34
.LBB7_33:                               ;   in Loop: Header=BB7_22 Depth=3
	s_or_b32 exec_lo, exec_lo, s33
	s_mov_b32 s33, 0
.LBB7_34:                               ;   in Loop: Header=BB7_22 Depth=3
	s_delay_alu instid0(SALU_CYCLE_1)
	v_dual_mov_b32 v2, s33 :: v_dual_mov_b32 v3, s33
	s_and_saveexec_b32 s33, s31
	s_cbranch_execnz .LBB7_47
; %bb.35:                               ;   in Loop: Header=BB7_22 Depth=3
	s_or_b32 exec_lo, exec_lo, s33
	s_delay_alu instid0(SALU_CYCLE_1)
	s_and_b32 vcc_lo, exec_lo, s25
	ds_store_b64 v12, v[2:3]
	s_cbranch_vccz .LBB7_48
.LBB7_36:                               ;   in Loop: Header=BB7_22 Depth=3
	s_mov_b32 s31, 0
	s_mov_b32 s33, 0
                                        ; implicit-def: $vgpr0
	s_and_saveexec_b32 s34, s1
	s_cbranch_execz .LBB7_40
; %bb.37:                               ;   in Loop: Header=BB7_22 Depth=3
	v_add_nc_u32_e32 v1, s30, v9
	s_mov_b32 s35, exec_lo
                                        ; implicit-def: $vgpr0
	s_delay_alu instid0(VALU_DEP_1)
	v_cmpx_gt_i32_e64 s15, v1
	s_xor_b32 s35, exec_lo, s35
; %bb.38:                               ;   in Loop: Header=BB7_22 Depth=3
	s_mov_b32 s33, exec_lo
	v_mul_lo_u32 v0, v1, s15
; %bb.39:                               ;   in Loop: Header=BB7_22 Depth=3
	s_or_b32 exec_lo, exec_lo, s35
	s_delay_alu instid0(SALU_CYCLE_1)
	s_and_b32 s33, s33, exec_lo
.LBB7_40:                               ;   in Loop: Header=BB7_22 Depth=3
	s_or_b32 exec_lo, exec_lo, s34
	v_mov_b32_e32 v2, v25
	s_and_b32 vcc_lo, exec_lo, s31
	s_cbranch_vccz .LBB7_42
.LBB7_41:                               ;   in Loop: Header=BB7_22 Depth=3
	v_add_nc_u32_e32 v0, s30, v9
	v_mov_b32_e32 v2, v26
	s_and_not1_b32 s33, s33, exec_lo
	s_delay_alu instid0(VALU_DEP_2) | instskip(SKIP_1) | instid1(SALU_CYCLE_1)
	v_cmp_gt_i32_e32 vcc_lo, s15, v0
	s_and_b32 s31, s1, vcc_lo
	s_and_b32 s34, s31, exec_lo
	s_mov_b32 s31, 0
	s_or_b32 s33, s33, s34
.LBB7_42:                               ;   in Loop: Header=BB7_22 Depth=3
	v_dual_mov_b32 v3, s31 :: v_dual_mov_b32 v4, s31
	s_and_saveexec_b32 s31, s33
	s_cbranch_execz .LBB7_44
; %bb.43:                               ;   in Loop: Header=BB7_22 Depth=3
	v_ashrrev_i32_e32 v3, 31, v2
	v_ashrrev_i32_e32 v1, 31, v0
	s_delay_alu instid0(VALU_DEP_2) | instskip(NEXT) | instid1(VALU_DEP_2)
	v_lshlrev_b64 v[2:3], 3, v[2:3]
	v_lshlrev_b64 v[0:1], 3, v[0:1]
	s_delay_alu instid0(VALU_DEP_2) | instskip(NEXT) | instid1(VALU_DEP_3)
	v_add_co_u32 v2, vcc_lo, s27, v2
	v_add_co_ci_u32_e32 v3, vcc_lo, s29, v3, vcc_lo
	s_delay_alu instid0(VALU_DEP_2) | instskip(NEXT) | instid1(VALU_DEP_2)
	v_add_co_u32 v0, vcc_lo, v2, v0
	v_add_co_ci_u32_e32 v1, vcc_lo, v3, v1, vcc_lo
	global_load_b64 v[3:4], v[0:1], off
.LBB7_44:                               ;   in Loop: Header=BB7_22 Depth=3
	s_or_b32 exec_lo, exec_lo, s31
	v_mov_b32_e32 v0, v21
	s_mov_b32 s31, 0
	s_waitcnt vmcnt(0)
	ds_store_b64 v11, v[3:4]
	s_waitcnt lgkmcnt(0)
	s_waitcnt_vscnt null, 0x0
	s_barrier
	buffer_gl0_inv
	s_set_inst_prefetch_distance 0x1
	.p2align	6
.LBB7_45:                               ;   Parent Loop BB7_18 Depth=1
                                        ;     Parent Loop BB7_21 Depth=2
                                        ;       Parent Loop BB7_22 Depth=3
                                        ; =>      This Inner Loop Header: Depth=4
	v_add_nc_u32_e32 v35, s31, v22
	s_add_i32 s31, s31, 32
	ds_load_2addr_b64 v[1:4], v0 offset1:32
	ds_load_b128 v[27:30], v35
	ds_load_2addr_b64 v[31:34], v0 offset0:64 offset1:96
	ds_load_b128 v[35:38], v35 offset:16
	s_cmpk_eq_i32 s31, 0x100
	v_add_nc_u32_e32 v0, 0x400, v0
	s_waitcnt lgkmcnt(2)
	v_fmac_f32_e32 v24, v1, v27
	v_fmac_f32_e32 v23, v2, v27
	s_delay_alu instid0(VALU_DEP_2) | instskip(NEXT) | instid1(VALU_DEP_1)
	v_fma_f32 v2, -v2, v28, v24
	v_dual_fmac_f32 v2, v3, v29 :: v_dual_fmac_f32 v23, v1, v28
	s_delay_alu instid0(VALU_DEP_1) | instskip(NEXT) | instid1(VALU_DEP_2)
	v_fma_f32 v1, -v4, v30, v2
	v_fmac_f32_e32 v23, v4, v29
	s_waitcnt lgkmcnt(0)
	s_delay_alu instid0(VALU_DEP_2) | instskip(NEXT) | instid1(VALU_DEP_2)
	v_fmac_f32_e32 v1, v31, v35
	v_fmac_f32_e32 v23, v3, v30
	s_delay_alu instid0(VALU_DEP_2) | instskip(NEXT) | instid1(VALU_DEP_2)
	v_fma_f32 v1, -v32, v36, v1
	v_fmac_f32_e32 v23, v32, v35
	s_delay_alu instid0(VALU_DEP_2) | instskip(NEXT) | instid1(VALU_DEP_2)
	v_fmac_f32_e32 v1, v33, v37
	v_fmac_f32_e32 v23, v31, v36
	s_delay_alu instid0(VALU_DEP_2) | instskip(NEXT) | instid1(VALU_DEP_2)
	v_fma_f32 v24, -v34, v38, v1
	v_fmac_f32_e32 v23, v34, v37
	s_delay_alu instid0(VALU_DEP_1)
	v_fmac_f32_e32 v23, v33, v38
	s_cbranch_scc0 .LBB7_45
; %bb.46:                               ;   in Loop: Header=BB7_22 Depth=3
	s_set_inst_prefetch_distance 0x2
	s_add_i32 s30, s30, 32
	s_delay_alu instid0(SALU_CYCLE_1)
	s_cmp_ge_i32 s30, s15
	s_barrier
	buffer_gl0_inv
	s_cbranch_scc0 .LBB7_22
	s_branch .LBB7_20
.LBB7_47:                               ;   in Loop: Header=BB7_22 Depth=3
	global_load_b64 v[2:3], v[0:1], off
	s_or_b32 exec_lo, exec_lo, s33
	s_delay_alu instid0(SALU_CYCLE_1)
	s_and_b32 vcc_lo, exec_lo, s25
	s_waitcnt vmcnt(0)
	ds_store_b64 v12, v[2:3]
	s_cbranch_vccnz .LBB7_36
.LBB7_48:                               ;   in Loop: Header=BB7_22 Depth=3
	s_mov_b32 s31, -1
	s_mov_b32 s33, 0
                                        ; implicit-def: $vgpr2
                                        ; implicit-def: $vgpr0
	s_cbranch_execnz .LBB7_41
	s_branch .LBB7_42
.LBB7_49:                               ;   in Loop: Header=BB7_18 Depth=1
	v_cmp_gt_i32_e32 vcc_lo, s15, v25
	s_and_b32 s2, s8, vcc_lo
	s_delay_alu instid0(SALU_CYCLE_1)
	s_and_saveexec_b32 s1, s2
	s_cbranch_execz .LBB7_17
; %bb.50:                               ;   in Loop: Header=BB7_18 Depth=1
	v_add_nc_u32_e32 v0, s14, v25
	s_delay_alu instid0(VALU_DEP_1) | instskip(SKIP_1) | instid1(SALU_CYCLE_1)
	v_ashrrev_i32_e32 v1, 31, v0
	s_and_saveexec_b32 s2, s9
	s_xor_b32 s2, exec_lo, s2
	s_cbranch_execz .LBB7_55
; %bb.51:                               ;   in Loop: Header=BB7_18 Depth=1
	s_and_b32 vcc_lo, exec_lo, s21
	s_mov_b32 s3, -1
	s_cbranch_vccz .LBB7_53
; %bb.52:                               ;   in Loop: Header=BB7_18 Depth=1
	v_mul_lo_u32 v4, v1, s22
	v_mul_lo_u32 v25, v0, s23
	v_mad_u64_u32 v[2:3], null, v0, s22, 0
	v_mul_f32_e32 v28, v23, v5
	s_mov_b32 s3, 0
	s_delay_alu instid0(VALU_DEP_1) | instskip(NEXT) | instid1(VALU_DEP_3)
	v_fmac_f32_e32 v28, v6, v24
	v_add3_u32 v3, v3, v25, v4
	v_mul_f32_e64 v4, v23, -v6
	s_delay_alu instid0(VALU_DEP_2) | instskip(NEXT) | instid1(VALU_DEP_2)
	v_lshlrev_b64 v[2:3], 3, v[2:3]
	v_fmac_f32_e32 v4, v5, v24
	s_delay_alu instid0(VALU_DEP_2) | instskip(NEXT) | instid1(VALU_DEP_3)
	v_add_co_u32 v2, vcc_lo, v17, v2
	v_add_co_ci_u32_e32 v3, vcc_lo, v18, v3, vcc_lo
	global_load_b64 v[25:26], v[2:3], off
	s_waitcnt vmcnt(0)
	v_fmac_f32_e32 v4, v7, v25
	v_fmac_f32_e32 v28, v8, v25
	s_delay_alu instid0(VALU_DEP_2) | instskip(NEXT) | instid1(VALU_DEP_2)
	v_fma_f32 v27, -v8, v26, v4
	v_fmac_f32_e32 v28, v7, v26
	global_store_b64 v[2:3], v[27:28], off
.LBB7_53:                               ;   in Loop: Header=BB7_18 Depth=1
	s_and_not1_b32 vcc_lo, exec_lo, s3
	s_cbranch_vccnz .LBB7_55
; %bb.54:                               ;   in Loop: Header=BB7_18 Depth=1
	v_lshlrev_b64 v[0:1], 3, v[0:1]
	v_mul_f32_e64 v4, v23, -v6
	v_mul_f32_e32 v25, v23, v5
                                        ; implicit-def: $vgpr23
	s_delay_alu instid0(VALU_DEP_2) | instskip(NEXT) | instid1(VALU_DEP_4)
	v_fmac_f32_e32 v4, v5, v24
	v_add_co_u32 v0, vcc_lo, v19, v0
	v_add_co_ci_u32_e32 v1, vcc_lo, v20, v1, vcc_lo
	global_load_b64 v[2:3], v[0:1], off
	s_waitcnt vmcnt(0)
	v_dual_fmac_f32 v25, v6, v24 :: v_dual_fmac_f32 v4, v7, v2
	s_delay_alu instid0(VALU_DEP_1) | instskip(NEXT) | instid1(VALU_DEP_2)
	v_fmac_f32_e32 v25, v8, v2
	v_fma_f32 v24, -v8, v3, v4
	s_delay_alu instid0(VALU_DEP_2)
	v_fmac_f32_e32 v25, v7, v3
	global_store_b64 v[0:1], v[24:25], off
                                        ; implicit-def: $vgpr24
                                        ; implicit-def: $vgpr0
.LBB7_55:                               ;   in Loop: Header=BB7_18 Depth=1
	s_and_not1_saveexec_b32 s2, s2
	s_cbranch_execz .LBB7_17
; %bb.56:                               ;   in Loop: Header=BB7_18 Depth=1
	v_mul_f32_e64 v2, v23, -v6
	v_mul_f32_e32 v3, v23, v5
	s_and_b32 vcc_lo, exec_lo, s21
	s_mov_b32 s2, -1
	s_delay_alu instid0(VALU_DEP_2) | instskip(NEXT) | instid1(VALU_DEP_2)
	v_fmac_f32_e32 v2, v5, v24
	v_fmac_f32_e32 v3, v6, v24
	s_cbranch_vccz .LBB7_58
; %bb.57:                               ;   in Loop: Header=BB7_18 Depth=1
	v_mul_lo_u32 v4, v1, s22
	v_mul_lo_u32 v25, v0, s23
	v_mad_u64_u32 v[23:24], null, v0, s22, 0
	s_mov_b32 s2, 0
	s_delay_alu instid0(VALU_DEP_1) | instskip(NEXT) | instid1(VALU_DEP_1)
	v_add3_u32 v24, v24, v25, v4
	v_lshlrev_b64 v[23:24], 3, v[23:24]
	s_delay_alu instid0(VALU_DEP_1) | instskip(NEXT) | instid1(VALU_DEP_2)
	v_add_co_u32 v23, vcc_lo, v17, v23
	v_add_co_ci_u32_e32 v24, vcc_lo, v18, v24, vcc_lo
	global_store_b64 v[23:24], v[2:3], off
.LBB7_58:                               ;   in Loop: Header=BB7_18 Depth=1
	s_and_not1_b32 vcc_lo, exec_lo, s2
	s_cbranch_vccnz .LBB7_17
; %bb.59:                               ;   in Loop: Header=BB7_18 Depth=1
	v_lshlrev_b64 v[0:1], 3, v[0:1]
	s_delay_alu instid0(VALU_DEP_1) | instskip(NEXT) | instid1(VALU_DEP_2)
	v_add_co_u32 v0, vcc_lo, v19, v0
	v_add_co_ci_u32_e32 v1, vcc_lo, v20, v1, vcc_lo
	global_store_b64 v[0:1], v[2:3], off
	s_branch .LBB7_17
.LBB7_60:
	s_nop 0
	s_sendmsg sendmsg(MSG_DEALLOC_VGPRS)
	s_endpgm
	.section	.rodata,"a",@progbits
	.p2align	6, 0x0
	.amdhsa_kernel _ZN9rocsparseL29bsrmm_general_blockdim_kernelILj32ELj32Eli21rocsparse_complex_numIfES2_S2_S2_EEvb20rocsparse_direction_T2_S4_llNS_24const_host_device_scalarIT6_EEPKT1_PKS4_PKT3_S4_PKT4_llS7_PT5_ll16rocsparse_order_21rocsparse_index_base_b
		.amdhsa_group_segment_fixed_size 16384
		.amdhsa_private_segment_fixed_size 0
		.amdhsa_kernarg_size 140
		.amdhsa_user_sgpr_count 14
		.amdhsa_user_sgpr_dispatch_ptr 0
		.amdhsa_user_sgpr_queue_ptr 0
		.amdhsa_user_sgpr_kernarg_segment_ptr 1
		.amdhsa_user_sgpr_dispatch_id 0
		.amdhsa_user_sgpr_private_segment_size 0
		.amdhsa_wavefront_size32 1
		.amdhsa_uses_dynamic_stack 0
		.amdhsa_enable_private_segment 0
		.amdhsa_system_sgpr_workgroup_id_x 1
		.amdhsa_system_sgpr_workgroup_id_y 1
		.amdhsa_system_sgpr_workgroup_id_z 0
		.amdhsa_system_sgpr_workgroup_info 0
		.amdhsa_system_vgpr_workitem_id 1
		.amdhsa_next_free_vgpr 39
		.amdhsa_next_free_sgpr 36
		.amdhsa_reserve_vcc 1
		.amdhsa_float_round_mode_32 0
		.amdhsa_float_round_mode_16_64 0
		.amdhsa_float_denorm_mode_32 3
		.amdhsa_float_denorm_mode_16_64 3
		.amdhsa_dx10_clamp 1
		.amdhsa_ieee_mode 1
		.amdhsa_fp16_overflow 0
		.amdhsa_workgroup_processor_mode 1
		.amdhsa_memory_ordered 1
		.amdhsa_forward_progress 0
		.amdhsa_shared_vgpr_count 0
		.amdhsa_exception_fp_ieee_invalid_op 0
		.amdhsa_exception_fp_denorm_src 0
		.amdhsa_exception_fp_ieee_div_zero 0
		.amdhsa_exception_fp_ieee_overflow 0
		.amdhsa_exception_fp_ieee_underflow 0
		.amdhsa_exception_fp_ieee_inexact 0
		.amdhsa_exception_int_div_zero 0
	.end_amdhsa_kernel
	.section	.text._ZN9rocsparseL29bsrmm_general_blockdim_kernelILj32ELj32Eli21rocsparse_complex_numIfES2_S2_S2_EEvb20rocsparse_direction_T2_S4_llNS_24const_host_device_scalarIT6_EEPKT1_PKS4_PKT3_S4_PKT4_llS7_PT5_ll16rocsparse_order_21rocsparse_index_base_b,"axG",@progbits,_ZN9rocsparseL29bsrmm_general_blockdim_kernelILj32ELj32Eli21rocsparse_complex_numIfES2_S2_S2_EEvb20rocsparse_direction_T2_S4_llNS_24const_host_device_scalarIT6_EEPKT1_PKS4_PKT3_S4_PKT4_llS7_PT5_ll16rocsparse_order_21rocsparse_index_base_b,comdat
.Lfunc_end7:
	.size	_ZN9rocsparseL29bsrmm_general_blockdim_kernelILj32ELj32Eli21rocsparse_complex_numIfES2_S2_S2_EEvb20rocsparse_direction_T2_S4_llNS_24const_host_device_scalarIT6_EEPKT1_PKS4_PKT3_S4_PKT4_llS7_PT5_ll16rocsparse_order_21rocsparse_index_base_b, .Lfunc_end7-_ZN9rocsparseL29bsrmm_general_blockdim_kernelILj32ELj32Eli21rocsparse_complex_numIfES2_S2_S2_EEvb20rocsparse_direction_T2_S4_llNS_24const_host_device_scalarIT6_EEPKT1_PKS4_PKT3_S4_PKT4_llS7_PT5_ll16rocsparse_order_21rocsparse_index_base_b
                                        ; -- End function
	.section	.AMDGPU.csdata,"",@progbits
; Kernel info:
; codeLenInByte = 2268
; NumSgprs: 38
; NumVgprs: 39
; ScratchSize: 0
; MemoryBound: 0
; FloatMode: 240
; IeeeMode: 1
; LDSByteSize: 16384 bytes/workgroup (compile time only)
; SGPRBlocks: 4
; VGPRBlocks: 4
; NumSGPRsForWavesPerEU: 38
; NumVGPRsForWavesPerEU: 39
; Occupancy: 16
; WaveLimiterHint : 1
; COMPUTE_PGM_RSRC2:SCRATCH_EN: 0
; COMPUTE_PGM_RSRC2:USER_SGPR: 14
; COMPUTE_PGM_RSRC2:TRAP_HANDLER: 0
; COMPUTE_PGM_RSRC2:TGID_X_EN: 1
; COMPUTE_PGM_RSRC2:TGID_Y_EN: 1
; COMPUTE_PGM_RSRC2:TGID_Z_EN: 0
; COMPUTE_PGM_RSRC2:TIDIG_COMP_CNT: 1
	.section	.text._ZN9rocsparseL29bsrmm_general_blockdim_kernelILj32ELj32Ell21rocsparse_complex_numIfES2_S2_S2_EEvb20rocsparse_direction_T2_S4_llNS_24const_host_device_scalarIT6_EEPKT1_PKS4_PKT3_S4_PKT4_llS7_PT5_ll16rocsparse_order_21rocsparse_index_base_b,"axG",@progbits,_ZN9rocsparseL29bsrmm_general_blockdim_kernelILj32ELj32Ell21rocsparse_complex_numIfES2_S2_S2_EEvb20rocsparse_direction_T2_S4_llNS_24const_host_device_scalarIT6_EEPKT1_PKS4_PKT3_S4_PKT4_llS7_PT5_ll16rocsparse_order_21rocsparse_index_base_b,comdat
	.globl	_ZN9rocsparseL29bsrmm_general_blockdim_kernelILj32ELj32Ell21rocsparse_complex_numIfES2_S2_S2_EEvb20rocsparse_direction_T2_S4_llNS_24const_host_device_scalarIT6_EEPKT1_PKS4_PKT3_S4_PKT4_llS7_PT5_ll16rocsparse_order_21rocsparse_index_base_b ; -- Begin function _ZN9rocsparseL29bsrmm_general_blockdim_kernelILj32ELj32Ell21rocsparse_complex_numIfES2_S2_S2_EEvb20rocsparse_direction_T2_S4_llNS_24const_host_device_scalarIT6_EEPKT1_PKS4_PKT3_S4_PKT4_llS7_PT5_ll16rocsparse_order_21rocsparse_index_base_b
	.p2align	8
	.type	_ZN9rocsparseL29bsrmm_general_blockdim_kernelILj32ELj32Ell21rocsparse_complex_numIfES2_S2_S2_EEvb20rocsparse_direction_T2_S4_llNS_24const_host_device_scalarIT6_EEPKT1_PKS4_PKT3_S4_PKT4_llS7_PT5_ll16rocsparse_order_21rocsparse_index_base_b,@function
_ZN9rocsparseL29bsrmm_general_blockdim_kernelILj32ELj32Ell21rocsparse_complex_numIfES2_S2_S2_EEvb20rocsparse_direction_T2_S4_llNS_24const_host_device_scalarIT6_EEPKT1_PKS4_PKT3_S4_PKT4_llS7_PT5_ll16rocsparse_order_21rocsparse_index_base_b: ; @_ZN9rocsparseL29bsrmm_general_blockdim_kernelILj32ELj32Ell21rocsparse_complex_numIfES2_S2_S2_EEvb20rocsparse_direction_T2_S4_llNS_24const_host_device_scalarIT6_EEPKT1_PKS4_PKT3_S4_PKT4_llS7_PT5_ll16rocsparse_order_21rocsparse_index_base_b
; %bb.0:
	s_clause 0x2
	s_load_b128 s[20:23], s[0:1], 0x88
	s_load_b64 s[6:7], s[0:1], 0x28
	s_load_b64 s[4:5], s[0:1], 0x68
	s_mov_b32 s2, s15
	s_waitcnt lgkmcnt(0)
	s_bitcmp1_b32 s22, 0
	v_mov_b32_e32 v6, s6
	s_cselect_b32 s3, -1, 0
	s_delay_alu instid0(SALU_CYCLE_1)
	s_and_b32 vcc_lo, exec_lo, s3
	s_xor_b32 s3, s3, -1
	s_cbranch_vccz .LBB8_11
; %bb.1:
	v_cndmask_b32_e64 v1, 0, 1, s3
	v_mov_b32_e32 v7, s7
	s_and_not1_b32 vcc_lo, exec_lo, s3
	s_cbranch_vccz .LBB8_12
.LBB8_2:
	s_delay_alu instid0(VALU_DEP_2)
	v_cmp_ne_u32_e32 vcc_lo, 1, v1
	v_mov_b32_e32 v8, s4
	s_cbranch_vccz .LBB8_13
.LBB8_3:
	v_cmp_ne_u32_e32 vcc_lo, 1, v1
	v_mov_b32_e32 v9, s5
	s_cbranch_vccnz .LBB8_5
.LBB8_4:
	v_dual_mov_b32 v1, s4 :: v_dual_mov_b32 v2, s5
	flat_load_b32 v9, v[1:2] offset:4
.LBB8_5:
	s_waitcnt vmcnt(0) lgkmcnt(0)
	v_cmp_eq_f32_e32 vcc_lo, 0, v6
	v_cmp_eq_f32_e64 s3, 0, v7
	s_delay_alu instid0(VALU_DEP_1)
	s_and_b32 s5, vcc_lo, s3
	s_mov_b32 s3, -1
	s_and_saveexec_b32 s4, s5
; %bb.6:
	v_cmp_neq_f32_e32 vcc_lo, 1.0, v8
	v_cmp_neq_f32_e64 s3, 0, v9
	s_delay_alu instid0(VALU_DEP_1) | instskip(NEXT) | instid1(SALU_CYCLE_1)
	s_or_b32 s3, vcc_lo, s3
	s_or_not1_b32 s3, s3, exec_lo
; %bb.7:
	s_or_b32 exec_lo, exec_lo, s4
	s_and_saveexec_b32 s4, s3
	s_cbranch_execz .LBB8_64
; %bb.8:
	s_clause 0x1
	s_load_b128 s[24:27], s[0:1], 0x8
	s_load_b64 s[4:5], s[0:1], 0x30
	s_ashr_i32 s15, s14, 31
	s_mov_b64 s[12:13], 0
	s_mov_b64 s[22:23], 0
	s_waitcnt lgkmcnt(0)
	v_cmp_ge_i64_e64 s6, s[14:15], s[24:25]
	v_cmp_lt_i64_e64 s3, s[14:15], s[24:25]
	s_delay_alu instid0(VALU_DEP_2)
	s_and_b32 vcc_lo, exec_lo, s6
	s_cbranch_vccz .LBB8_14
; %bb.9:
	s_delay_alu instid0(VALU_DEP_1)
	s_and_not1_b32 vcc_lo, exec_lo, s3
	s_cbranch_vccz .LBB8_15
.LBB8_10:
	s_load_b64 s[24:25], s[0:1], 0x48
	s_waitcnt lgkmcnt(0)
	v_cmp_lt_i64_e64 s4, s[24:25], 1
	s_delay_alu instid0(VALU_DEP_1)
	s_and_b32 vcc_lo, exec_lo, s4
	s_cbranch_vccz .LBB8_16
	s_branch .LBB8_64
.LBB8_11:
	v_dual_mov_b32 v1, s6 :: v_dual_mov_b32 v2, s7
	flat_load_b32 v6, v[1:2]
	v_cndmask_b32_e64 v1, 0, 1, s3
	v_mov_b32_e32 v7, s7
	s_and_not1_b32 vcc_lo, exec_lo, s3
	s_cbranch_vccnz .LBB8_2
.LBB8_12:
	v_dual_mov_b32 v2, s6 :: v_dual_mov_b32 v3, s7
	flat_load_b32 v7, v[2:3] offset:4
	v_cmp_ne_u32_e32 vcc_lo, 1, v1
	v_mov_b32_e32 v8, s4
	s_cbranch_vccnz .LBB8_3
.LBB8_13:
	v_dual_mov_b32 v2, s4 :: v_dual_mov_b32 v3, s5
	flat_load_b32 v8, v[2:3]
	v_cmp_ne_u32_e32 vcc_lo, 1, v1
	v_mov_b32_e32 v9, s5
	s_cbranch_vccz .LBB8_4
	s_branch .LBB8_5
.LBB8_14:
	s_lshl_b64 s[6:7], s[14:15], 3
	s_delay_alu instid0(SALU_CYCLE_1)
	s_add_u32 s6, s4, s6
	s_addc_u32 s7, s5, s7
	s_load_b64 s[6:7], s[6:7], 0x0
	s_waitcnt lgkmcnt(0)
	s_sub_u32 s22, s6, s21
	s_subb_u32 s23, s7, 0
	s_and_not1_b32 vcc_lo, exec_lo, s3
	s_cbranch_vccnz .LBB8_10
.LBB8_15:
	s_lshl_b64 s[6:7], s[14:15], 3
	s_delay_alu instid0(SALU_CYCLE_1)
	s_add_u32 s4, s4, s6
	s_addc_u32 s5, s5, s7
	s_load_b64 s[4:5], s[4:5], 0x8
	s_waitcnt lgkmcnt(0)
	s_sub_u32 s12, s4, s21
	s_subb_u32 s13, s5, 0
	s_load_b64 s[24:25], s[0:1], 0x48
	s_waitcnt lgkmcnt(0)
	v_cmp_lt_i64_e64 s4, s[24:25], 1
	s_delay_alu instid0(VALU_DEP_1)
	s_and_b32 vcc_lo, exec_lo, s4
	s_cbranch_vccnz .LBB8_64
.LBB8_16:
	s_clause 0x1
	s_load_b128 s[4:7], s[0:1], 0x50
	s_load_b128 s[8:11], s[0:1], 0x70
	v_bfe_u32 v10, v0, 10, 10
	v_and_b32_e32 v11, 0x3ff, v0
	v_mov_b32_e32 v1, 0
	s_clause 0x1
	s_load_b128 s[16:19], s[0:1], 0x38
	s_load_b64 s[30:31], s[0:1], 0x0
	s_mul_i32 s15, s14, s25
	v_lshlrev_b32_e32 v4, 5, v10
	v_lshl_add_u32 v0, s2, 5, v10
	s_mul_hi_u32 s33, s14, s24
	s_mul_i32 s28, s14, s24
	s_mul_i32 s14, s24, s25
	v_add_lshl_u32 v12, v4, v11, 3
	v_lshlrev_b64 v[4:5], 3, v[0:1]
	v_cmp_gt_i64_e64 s0, s[26:27], v[0:1]
	s_mul_hi_u32 s34, s24, s24
	v_cmp_neq_f32_e32 vcc_lo, 0, v8
	v_cmp_neq_f32_e64 s1, 0, v9
	v_add_nc_u32_e32 v13, 0x2000, v12
	v_lshl_add_u32 v23, v10, 8, 0x2000
	s_waitcnt lgkmcnt(0)
	v_mad_u64_u32 v[2:3], null, v0, s6, 0
	v_mad_u64_u32 v[20:21], null, v0, s10, 0
	v_add_co_u32 v14, s2, s8, v4
	s_delay_alu instid0(VALU_DEP_1) | instskip(NEXT) | instid1(VALU_DEP_4)
	v_add_co_ci_u32_e64 v15, s2, s9, v5, s2
	v_dual_mov_b32 v1, v3 :: v_dual_lshlrev_b32 v22, 3, v11
	v_add_co_u32 v16, s2, s4, v4
	s_delay_alu instid0(VALU_DEP_1) | instskip(NEXT) | instid1(VALU_DEP_3)
	v_add_co_ci_u32_e64 v17, s2, s5, v5, s2
	v_mad_u64_u32 v[18:19], null, v0, s7, v[1:2]
	v_mov_b32_e32 v1, v21
	s_bitcmp1_b32 s30, 0
	s_mul_i32 s29, s24, s24
	s_cselect_b32 s2, -1, 0
	s_add_i32 s26, s33, s15
	v_mad_u64_u32 v[4:5], null, v0, s11, v[1:2]
	s_delay_alu instid0(VALU_DEP_3) | instskip(SKIP_2) | instid1(SALU_CYCLE_1)
	v_mov_b32_e32 v3, v18
	s_xor_b32 s27, s2, -1
	s_add_i32 s15, s34, s14
	s_add_i32 s30, s15, s14
	s_delay_alu instid0(VALU_DEP_1) | instskip(NEXT) | instid1(VALU_DEP_3)
	v_lshlrev_b64 v[0:1], 3, v[2:3]
	v_mov_b32_e32 v21, v4
	s_cmp_lg_u32 s31, 0
	s_cselect_b32 s31, -1, 0
	s_and_b32 s33, s3, s0
	s_delay_alu instid0(VALU_DEP_2) | instskip(NEXT) | instid1(VALU_DEP_1)
	v_add_co_u32 v18, s2, s4, v0
	v_add_co_ci_u32_e64 v19, s2, s5, v1, s2
	v_lshlrev_b64 v[0:1], 3, v[20:21]
	s_or_b32 s34, vcc_lo, s1
	s_cmp_lg_u32 s20, 1
	v_cmp_lt_i64_e64 s20, s[22:23], s[12:13]
	s_cselect_b32 s35, -1, 0
	s_mov_b64 s[2:3], 0
	v_add_co_u32 v20, vcc_lo, s8, v0
	v_add_co_ci_u32_e32 v21, vcc_lo, s9, v1, vcc_lo
	s_branch .LBB8_18
.LBB8_17:                               ;   in Loop: Header=BB8_18 Depth=1
	s_or_b32 exec_lo, exec_lo, s1
	s_add_u32 s2, s2, 32
	s_addc_u32 s3, s3, 0
	s_delay_alu instid0(SALU_CYCLE_1) | instskip(NEXT) | instid1(VALU_DEP_1)
	v_cmp_lt_i64_e64 s1, s[2:3], s[24:25]
	s_and_b32 vcc_lo, exec_lo, s1
	s_cbranch_vccz .LBB8_64
.LBB8_18:                               ; =>This Loop Header: Depth=1
                                        ;     Child Loop BB8_21 Depth 2
                                        ;       Child Loop BB8_22 Depth 3
                                        ;         Child Loop BB8_44 Depth 4
	v_add_co_u32 v0, s1, s2, v11
	s_delay_alu instid0(VALU_DEP_1) | instskip(SKIP_2) | instid1(VALU_DEP_2)
	v_add_co_ci_u32_e64 v1, null, s3, 0, s1
	v_dual_mov_b32 v24, 0 :: v_dual_mov_b32 v25, 0
	s_and_not1_b32 vcc_lo, exec_lo, s20
	v_cmp_gt_i64_e64 s1, s[24:25], v[0:1]
	s_cbranch_vccnz .LBB8_53
; %bb.19:                               ;   in Loop: Header=BB8_18 Depth=1
	v_mul_lo_u32 v4, v1, s24
	v_mul_lo_u32 v5, v0, s25
	v_mad_u64_u32 v[2:3], null, v0, s24, 0
	v_dual_mov_b32 v24, 0 :: v_dual_mov_b32 v25, 0
	s_mov_b64 s[4:5], s[22:23]
	s_delay_alu instid0(VALU_DEP_2) | instskip(SKIP_1) | instid1(VALU_DEP_2)
	v_add3_u32 v3, v3, v5, v4
	v_lshlrev_b64 v[4:5], 3, v[0:1]
	v_lshlrev_b64 v[2:3], 3, v[2:3]
	s_delay_alu instid0(VALU_DEP_2) | instskip(NEXT) | instid1(VALU_DEP_3)
	v_add_co_u32 v26, vcc_lo, s18, v4
	v_add_co_ci_u32_e32 v27, vcc_lo, s19, v5, vcc_lo
	s_delay_alu instid0(VALU_DEP_3) | instskip(NEXT) | instid1(VALU_DEP_4)
	v_add_co_u32 v28, vcc_lo, s18, v2
	v_add_co_ci_u32_e32 v29, vcc_lo, s19, v3, vcc_lo
	s_branch .LBB8_21
.LBB8_20:                               ;   in Loop: Header=BB8_21 Depth=2
	s_add_u32 s4, s4, 1
	s_addc_u32 s5, s5, 0
	s_delay_alu instid0(SALU_CYCLE_1) | instskip(NEXT) | instid1(VALU_DEP_1)
	v_cmp_ge_i64_e64 s8, s[4:5], s[12:13]
	s_and_b32 vcc_lo, exec_lo, s8
	s_cbranch_vccnz .LBB8_53
.LBB8_21:                               ;   Parent Loop BB8_18 Depth=1
                                        ; =>  This Loop Header: Depth=2
                                        ;       Child Loop BB8_22 Depth 3
                                        ;         Child Loop BB8_44 Depth 4
	s_mul_i32 s8, s29, s5
	s_mul_hi_u32 s9, s29, s4
	s_mul_i32 s15, s30, s4
	s_add_i32 s14, s9, s8
	s_lshl_b64 s[8:9], s[4:5], 3
	s_add_i32 s15, s14, s15
	s_add_u32 s8, s16, s8
	s_addc_u32 s9, s17, s9
	s_mul_i32 s14, s29, s4
	s_load_b64 s[8:9], s[8:9], 0x0
	s_waitcnt lgkmcnt(0)
	s_sub_u32 s8, s8, s21
	s_subb_u32 s9, s9, 0
	s_mul_i32 s36, s8, s25
	s_mul_hi_u32 s37, s8, s24
	s_mul_i32 s9, s9, s24
	s_add_i32 s36, s37, s36
	s_lshl_b64 s[14:15], s[14:15], 3
	s_mul_i32 s8, s8, s24
	s_add_i32 s9, s36, s9
	v_add_co_u32 v30, vcc_lo, v26, s14
	s_lshl_b64 s[36:37], s[8:9], 3
	v_add_co_ci_u32_e32 v31, vcc_lo, s15, v27, vcc_lo
	v_add_co_u32 v32, vcc_lo, v18, s36
	v_add_co_ci_u32_e32 v33, vcc_lo, s37, v19, vcc_lo
	v_add_co_u32 v34, vcc_lo, v28, s14
	v_add_co_ci_u32_e32 v35, vcc_lo, s15, v29, vcc_lo
	s_mov_b64 s[14:15], 0
.LBB8_22:                               ;   Parent Loop BB8_18 Depth=1
                                        ;     Parent Loop BB8_21 Depth=2
                                        ; =>    This Loop Header: Depth=3
                                        ;         Child Loop BB8_44 Depth 4
	s_and_b32 vcc_lo, exec_lo, s27
	s_cbranch_vccz .LBB8_28
; %bb.23:                               ;   in Loop: Header=BB8_22 Depth=3
	s_mov_b32 s37, 0
	s_mov_b32 s36, 0
                                        ; implicit-def: $vgpr2_vgpr3
	s_and_saveexec_b32 s38, s0
	s_cbranch_execz .LBB8_27
; %bb.24:                               ;   in Loop: Header=BB8_22 Depth=3
	v_add_co_u32 v4, s36, s14, v11
	s_delay_alu instid0(VALU_DEP_1) | instskip(SKIP_2) | instid1(VALU_DEP_1)
	v_add_co_ci_u32_e64 v5, null, s15, 0, s36
	s_mov_b32 s36, 0
	s_mov_b32 s39, exec_lo
                                        ; implicit-def: $vgpr2_vgpr3
	v_cmpx_gt_i64_e64 s[24:25], v[4:5]
	s_xor_b32 s39, exec_lo, s39
; %bb.25:                               ;   in Loop: Header=BB8_22 Depth=3
	v_add_co_u32 v4, vcc_lo, v4, s8
	v_add_co_ci_u32_e32 v2, vcc_lo, s9, v5, vcc_lo
	s_mov_b32 s36, exec_lo
	s_delay_alu instid0(VALU_DEP_2) | instskip(NEXT) | instid1(VALU_DEP_2)
	v_mul_lo_u32 v36, v4, s7
	v_mul_lo_u32 v5, v2, s6
	v_mad_u64_u32 v[2:3], null, v4, s6, 0
	s_delay_alu instid0(VALU_DEP_1) | instskip(NEXT) | instid1(VALU_DEP_1)
	v_add3_u32 v3, v3, v36, v5
	v_lshlrev_b64 v[2:3], 3, v[2:3]
	s_delay_alu instid0(VALU_DEP_1) | instskip(NEXT) | instid1(VALU_DEP_2)
	v_add_co_u32 v2, vcc_lo, v16, v2
	v_add_co_ci_u32_e32 v3, vcc_lo, v17, v3, vcc_lo
; %bb.26:                               ;   in Loop: Header=BB8_22 Depth=3
	s_or_b32 exec_lo, exec_lo, s39
	s_delay_alu instid0(SALU_CYCLE_1)
	s_and_b32 s36, s36, exec_lo
.LBB8_27:                               ;   in Loop: Header=BB8_22 Depth=3
	s_or_b32 exec_lo, exec_lo, s38
	s_delay_alu instid0(SALU_CYCLE_1)
	s_and_b32 vcc_lo, exec_lo, s37
	s_cbranch_vccnz .LBB8_29
	s_branch .LBB8_34
.LBB8_28:                               ;   in Loop: Header=BB8_22 Depth=3
	s_mov_b32 s37, -1
	s_mov_b32 s36, 0
                                        ; implicit-def: $vgpr2_vgpr3
	s_cbranch_execz .LBB8_34
.LBB8_29:                               ;   in Loop: Header=BB8_22 Depth=3
                                        ; implicit-def: $vgpr2_vgpr3
	s_and_saveexec_b32 s37, s0
	s_cbranch_execz .LBB8_33
; %bb.30:                               ;   in Loop: Header=BB8_22 Depth=3
	v_add_co_u32 v4, s38, s14, v11
	s_delay_alu instid0(VALU_DEP_1) | instskip(SKIP_2) | instid1(VALU_DEP_1)
	v_add_co_ci_u32_e64 v5, null, s15, 0, s38
	s_mov_b32 s39, s36
	s_mov_b32 s38, exec_lo
                                        ; implicit-def: $vgpr2_vgpr3
	v_cmpx_gt_i64_e64 s[24:25], v[4:5]
; %bb.31:                               ;   in Loop: Header=BB8_22 Depth=3
	v_lshlrev_b64 v[2:3], 3, v[4:5]
	s_or_b32 s39, s36, exec_lo
	s_delay_alu instid0(VALU_DEP_1) | instskip(NEXT) | instid1(VALU_DEP_2)
	v_add_co_u32 v2, vcc_lo, v32, v2
	v_add_co_ci_u32_e32 v3, vcc_lo, v33, v3, vcc_lo
; %bb.32:                               ;   in Loop: Header=BB8_22 Depth=3
	s_or_b32 exec_lo, exec_lo, s38
	s_delay_alu instid0(SALU_CYCLE_1) | instskip(SKIP_1) | instid1(SALU_CYCLE_1)
	s_and_not1_b32 s36, s36, exec_lo
	s_and_b32 s38, s39, exec_lo
	s_or_b32 s36, s36, s38
.LBB8_33:                               ;   in Loop: Header=BB8_22 Depth=3
	s_or_b32 exec_lo, exec_lo, s37
	s_mov_b32 s37, 0
.LBB8_34:                               ;   in Loop: Header=BB8_22 Depth=3
	s_delay_alu instid0(SALU_CYCLE_1)
	v_dual_mov_b32 v4, s37 :: v_dual_mov_b32 v5, s37
	s_and_saveexec_b32 s37, s36
	s_cbranch_execnz .LBB8_46
; %bb.35:                               ;   in Loop: Header=BB8_22 Depth=3
	s_or_b32 exec_lo, exec_lo, s37
	s_delay_alu instid0(SALU_CYCLE_1)
	s_and_b32 vcc_lo, exec_lo, s31
	ds_store_b64 v13, v[4:5]
	s_cbranch_vccz .LBB8_47
.LBB8_36:                               ;   in Loop: Header=BB8_22 Depth=3
	s_mov_b32 s37, 0
	s_mov_b32 s36, 0
                                        ; implicit-def: $vgpr2_vgpr3
	s_and_saveexec_b32 s38, s1
	s_cbranch_execz .LBB8_40
; %bb.37:                               ;   in Loop: Header=BB8_22 Depth=3
	v_add_co_u32 v4, s36, s14, v10
	s_delay_alu instid0(VALU_DEP_1) | instskip(SKIP_2) | instid1(VALU_DEP_1)
	v_add_co_ci_u32_e64 v5, null, s15, 0, s36
	s_mov_b32 s36, 0
	s_mov_b32 s39, exec_lo
                                        ; implicit-def: $vgpr2_vgpr3
	v_cmpx_gt_i64_e64 s[24:25], v[4:5]
	s_xor_b32 s39, exec_lo, s39
; %bb.38:                               ;   in Loop: Header=BB8_22 Depth=3
	v_mul_lo_u32 v5, v5, s24
	v_mul_lo_u32 v36, v4, s25
	v_mad_u64_u32 v[2:3], null, v4, s24, 0
	s_mov_b32 s36, exec_lo
	s_delay_alu instid0(VALU_DEP_1) | instskip(NEXT) | instid1(VALU_DEP_1)
	v_add3_u32 v3, v3, v36, v5
	v_lshlrev_b64 v[2:3], 3, v[2:3]
	s_delay_alu instid0(VALU_DEP_1) | instskip(NEXT) | instid1(VALU_DEP_2)
	v_add_co_u32 v2, vcc_lo, v30, v2
	v_add_co_ci_u32_e32 v3, vcc_lo, v31, v3, vcc_lo
; %bb.39:                               ;   in Loop: Header=BB8_22 Depth=3
	s_or_b32 exec_lo, exec_lo, s39
	s_delay_alu instid0(SALU_CYCLE_1)
	s_and_b32 s36, s36, exec_lo
.LBB8_40:                               ;   in Loop: Header=BB8_22 Depth=3
	s_or_b32 exec_lo, exec_lo, s38
	s_delay_alu instid0(SALU_CYCLE_1)
	s_and_b32 vcc_lo, exec_lo, s37
	s_cbranch_vccnz .LBB8_48
.LBB8_41:                               ;   in Loop: Header=BB8_22 Depth=3
	v_dual_mov_b32 v4, s37 :: v_dual_mov_b32 v5, s37
	s_and_saveexec_b32 s37, s36
	s_cbranch_execz .LBB8_43
.LBB8_42:                               ;   in Loop: Header=BB8_22 Depth=3
	global_load_b64 v[4:5], v[2:3], off
.LBB8_43:                               ;   in Loop: Header=BB8_22 Depth=3
	s_or_b32 exec_lo, exec_lo, s37
	v_mov_b32_e32 v2, v22
	s_mov_b32 s36, 0
	s_waitcnt vmcnt(0)
	ds_store_b64 v12, v[4:5]
	s_waitcnt lgkmcnt(0)
	s_waitcnt_vscnt null, 0x0
	s_barrier
	buffer_gl0_inv
	s_set_inst_prefetch_distance 0x1
	.p2align	6
.LBB8_44:                               ;   Parent Loop BB8_18 Depth=1
                                        ;     Parent Loop BB8_21 Depth=2
                                        ;       Parent Loop BB8_22 Depth=3
                                        ; =>      This Inner Loop Header: Depth=4
	v_add_nc_u32_e32 v3, s36, v23
	s_add_i32 s36, s36, 32
	ds_load_2addr_b64 v[36:39], v2 offset1:32
	ds_load_b128 v[40:43], v3
	ds_load_2addr_b64 v[44:47], v2 offset0:64 offset1:96
	ds_load_b128 v[48:51], v3 offset:16
	v_add_nc_u32_e32 v2, 0x400, v2
	s_cmpk_eq_i32 s36, 0x100
	s_waitcnt lgkmcnt(2)
	v_fmac_f32_e32 v24, v37, v40
	s_delay_alu instid0(VALU_DEP_1) | instskip(NEXT) | instid1(VALU_DEP_1)
	v_fmac_f32_e32 v24, v36, v41
	v_dual_fmac_f32 v25, v36, v40 :: v_dual_fmac_f32 v24, v39, v42
	s_delay_alu instid0(VALU_DEP_1) | instskip(NEXT) | instid1(VALU_DEP_1)
	v_fma_f32 v3, -v37, v41, v25
	v_fmac_f32_e32 v3, v38, v42
	s_delay_alu instid0(VALU_DEP_1) | instskip(SKIP_1) | instid1(VALU_DEP_1)
	v_fma_f32 v3, -v39, v43, v3
	s_waitcnt lgkmcnt(0)
	v_dual_fmac_f32 v24, v38, v43 :: v_dual_fmac_f32 v3, v44, v48
	s_delay_alu instid0(VALU_DEP_1) | instskip(NEXT) | instid1(VALU_DEP_1)
	v_fma_f32 v3, -v45, v49, v3
	v_dual_fmac_f32 v24, v45, v48 :: v_dual_fmac_f32 v3, v46, v50
	s_delay_alu instid0(VALU_DEP_1) | instskip(NEXT) | instid1(VALU_DEP_2)
	v_fmac_f32_e32 v24, v44, v49
	v_fma_f32 v25, -v47, v51, v3
	s_delay_alu instid0(VALU_DEP_2) | instskip(NEXT) | instid1(VALU_DEP_1)
	v_fmac_f32_e32 v24, v47, v50
	v_fmac_f32_e32 v24, v46, v51
	s_cbranch_scc0 .LBB8_44
; %bb.45:                               ;   in Loop: Header=BB8_22 Depth=3
	s_set_inst_prefetch_distance 0x2
	s_add_u32 s14, s14, 32
	s_addc_u32 s15, s15, 0
	s_delay_alu instid0(SALU_CYCLE_1)
	v_cmp_ge_i64_e64 s36, s[14:15], s[24:25]
	s_barrier
	buffer_gl0_inv
	s_and_b32 vcc_lo, exec_lo, s36
	s_cbranch_vccz .LBB8_22
	s_branch .LBB8_20
.LBB8_46:                               ;   in Loop: Header=BB8_22 Depth=3
	global_load_b64 v[4:5], v[2:3], off
	s_or_b32 exec_lo, exec_lo, s37
	s_delay_alu instid0(SALU_CYCLE_1)
	s_and_b32 vcc_lo, exec_lo, s31
	s_waitcnt vmcnt(0)
	ds_store_b64 v13, v[4:5]
	s_cbranch_vccnz .LBB8_36
.LBB8_47:                               ;   in Loop: Header=BB8_22 Depth=3
	s_mov_b32 s37, -1
	s_mov_b32 s36, 0
                                        ; implicit-def: $vgpr2_vgpr3
	s_cbranch_execz .LBB8_41
.LBB8_48:                               ;   in Loop: Header=BB8_22 Depth=3
                                        ; implicit-def: $vgpr2_vgpr3
	s_and_saveexec_b32 s37, s1
	s_cbranch_execz .LBB8_52
; %bb.49:                               ;   in Loop: Header=BB8_22 Depth=3
	v_add_co_u32 v4, s38, s14, v10
	s_delay_alu instid0(VALU_DEP_1) | instskip(SKIP_2) | instid1(VALU_DEP_1)
	v_add_co_ci_u32_e64 v5, null, s15, 0, s38
	s_mov_b32 s39, s36
	s_mov_b32 s38, exec_lo
                                        ; implicit-def: $vgpr2_vgpr3
	v_cmpx_gt_i64_e64 s[24:25], v[4:5]
; %bb.50:                               ;   in Loop: Header=BB8_22 Depth=3
	v_lshlrev_b64 v[2:3], 3, v[4:5]
	s_or_b32 s39, s36, exec_lo
	s_delay_alu instid0(VALU_DEP_1) | instskip(NEXT) | instid1(VALU_DEP_2)
	v_add_co_u32 v2, vcc_lo, v34, v2
	v_add_co_ci_u32_e32 v3, vcc_lo, v35, v3, vcc_lo
; %bb.51:                               ;   in Loop: Header=BB8_22 Depth=3
	s_or_b32 exec_lo, exec_lo, s38
	s_delay_alu instid0(SALU_CYCLE_1) | instskip(SKIP_1) | instid1(SALU_CYCLE_1)
	s_and_not1_b32 s36, s36, exec_lo
	s_and_b32 s38, s39, exec_lo
	s_or_b32 s36, s36, s38
.LBB8_52:                               ;   in Loop: Header=BB8_22 Depth=3
	s_or_b32 exec_lo, exec_lo, s37
	s_mov_b32 s37, 0
	s_delay_alu instid0(SALU_CYCLE_1)
	v_dual_mov_b32 v4, s37 :: v_dual_mov_b32 v5, s37
	s_and_saveexec_b32 s37, s36
	s_cbranch_execnz .LBB8_42
	s_branch .LBB8_43
.LBB8_53:                               ;   in Loop: Header=BB8_18 Depth=1
	v_cmp_gt_i64_e32 vcc_lo, s[24:25], v[0:1]
	s_and_b32 s4, s33, vcc_lo
	s_delay_alu instid0(SALU_CYCLE_1)
	s_and_saveexec_b32 s1, s4
	s_cbranch_execz .LBB8_17
; %bb.54:                               ;   in Loop: Header=BB8_18 Depth=1
	v_add_co_u32 v0, vcc_lo, v0, s28
	v_add_co_ci_u32_e32 v1, vcc_lo, s26, v1, vcc_lo
	s_and_saveexec_b32 s4, s34
	s_delay_alu instid0(SALU_CYCLE_1)
	s_xor_b32 s4, exec_lo, s4
	s_cbranch_execz .LBB8_59
; %bb.55:                               ;   in Loop: Header=BB8_18 Depth=1
	s_and_b32 vcc_lo, exec_lo, s35
	s_mov_b32 s5, -1
	s_cbranch_vccz .LBB8_57
; %bb.56:                               ;   in Loop: Header=BB8_18 Depth=1
	v_mul_lo_u32 v4, v1, s10
	v_mul_lo_u32 v5, v0, s11
	v_mad_u64_u32 v[2:3], null, v0, s10, 0
	v_mul_f32_e64 v26, v24, -v7
	v_mul_f32_e32 v27, v24, v6
	s_mov_b32 s5, 0
	s_delay_alu instid0(VALU_DEP_2) | instskip(NEXT) | instid1(VALU_DEP_4)
	v_fmac_f32_e32 v26, v6, v25
	v_add3_u32 v3, v3, v5, v4
	s_delay_alu instid0(VALU_DEP_1) | instskip(NEXT) | instid1(VALU_DEP_1)
	v_lshlrev_b64 v[2:3], 3, v[2:3]
	v_add_co_u32 v2, vcc_lo, v14, v2
	s_delay_alu instid0(VALU_DEP_2) | instskip(SKIP_3) | instid1(VALU_DEP_1)
	v_add_co_ci_u32_e32 v3, vcc_lo, v15, v3, vcc_lo
	global_load_b64 v[4:5], v[2:3], off
	s_waitcnt vmcnt(0)
	v_dual_fmac_f32 v27, v7, v25 :: v_dual_fmac_f32 v26, v8, v4
	v_fmac_f32_e32 v27, v9, v4
	s_delay_alu instid0(VALU_DEP_2) | instskip(NEXT) | instid1(VALU_DEP_2)
	v_fma_f32 v26, -v9, v5, v26
	v_fmac_f32_e32 v27, v8, v5
	global_store_b64 v[2:3], v[26:27], off
.LBB8_57:                               ;   in Loop: Header=BB8_18 Depth=1
	s_and_not1_b32 vcc_lo, exec_lo, s5
	s_cbranch_vccnz .LBB8_59
; %bb.58:                               ;   in Loop: Header=BB8_18 Depth=1
	v_lshlrev_b64 v[0:1], 3, v[0:1]
	v_mul_f32_e64 v4, v24, -v7
	v_mul_f32_e32 v5, v24, v6
                                        ; implicit-def: $vgpr24
	s_delay_alu instid0(VALU_DEP_2) | instskip(NEXT) | instid1(VALU_DEP_4)
	v_fmac_f32_e32 v4, v6, v25
	v_add_co_u32 v0, vcc_lo, v20, v0
	v_add_co_ci_u32_e32 v1, vcc_lo, v21, v1, vcc_lo
	global_load_b64 v[2:3], v[0:1], off
	v_fmac_f32_e32 v5, v7, v25
                                        ; implicit-def: $vgpr25
	s_waitcnt vmcnt(0)
	v_fmac_f32_e32 v4, v8, v2
	s_delay_alu instid0(VALU_DEP_2) | instskip(NEXT) | instid1(VALU_DEP_2)
	v_fmac_f32_e32 v5, v9, v2
	v_fma_f32 v4, -v9, v3, v4
	s_delay_alu instid0(VALU_DEP_2)
	v_fmac_f32_e32 v5, v8, v3
	global_store_b64 v[0:1], v[4:5], off
                                        ; implicit-def: $vgpr0_vgpr1
.LBB8_59:                               ;   in Loop: Header=BB8_18 Depth=1
	s_and_not1_saveexec_b32 s4, s4
	s_cbranch_execz .LBB8_17
; %bb.60:                               ;   in Loop: Header=BB8_18 Depth=1
	v_mul_f32_e64 v2, v24, -v7
	v_mul_f32_e32 v3, v24, v6
	s_and_b32 vcc_lo, exec_lo, s35
	s_mov_b32 s4, -1
	s_delay_alu instid0(VALU_DEP_2) | instskip(NEXT) | instid1(VALU_DEP_2)
	v_fmac_f32_e32 v2, v6, v25
	v_fmac_f32_e32 v3, v7, v25
	s_cbranch_vccz .LBB8_62
; %bb.61:                               ;   in Loop: Header=BB8_18 Depth=1
	v_mul_lo_u32 v24, v1, s10
	v_mul_lo_u32 v25, v0, s11
	v_mad_u64_u32 v[4:5], null, v0, s10, 0
	s_mov_b32 s4, 0
	s_delay_alu instid0(VALU_DEP_1) | instskip(NEXT) | instid1(VALU_DEP_1)
	v_add3_u32 v5, v5, v25, v24
	v_lshlrev_b64 v[4:5], 3, v[4:5]
	s_delay_alu instid0(VALU_DEP_1) | instskip(NEXT) | instid1(VALU_DEP_2)
	v_add_co_u32 v4, vcc_lo, v14, v4
	v_add_co_ci_u32_e32 v5, vcc_lo, v15, v5, vcc_lo
	global_store_b64 v[4:5], v[2:3], off
.LBB8_62:                               ;   in Loop: Header=BB8_18 Depth=1
	s_and_not1_b32 vcc_lo, exec_lo, s4
	s_cbranch_vccnz .LBB8_17
; %bb.63:                               ;   in Loop: Header=BB8_18 Depth=1
	v_lshlrev_b64 v[0:1], 3, v[0:1]
	s_delay_alu instid0(VALU_DEP_1) | instskip(NEXT) | instid1(VALU_DEP_2)
	v_add_co_u32 v0, vcc_lo, v20, v0
	v_add_co_ci_u32_e32 v1, vcc_lo, v21, v1, vcc_lo
	global_store_b64 v[0:1], v[2:3], off
	s_branch .LBB8_17
.LBB8_64:
	s_nop 0
	s_sendmsg sendmsg(MSG_DEALLOC_VGPRS)
	s_endpgm
	.section	.rodata,"a",@progbits
	.p2align	6, 0x0
	.amdhsa_kernel _ZN9rocsparseL29bsrmm_general_blockdim_kernelILj32ELj32Ell21rocsparse_complex_numIfES2_S2_S2_EEvb20rocsparse_direction_T2_S4_llNS_24const_host_device_scalarIT6_EEPKT1_PKS4_PKT3_S4_PKT4_llS7_PT5_ll16rocsparse_order_21rocsparse_index_base_b
		.amdhsa_group_segment_fixed_size 16384
		.amdhsa_private_segment_fixed_size 0
		.amdhsa_kernarg_size 148
		.amdhsa_user_sgpr_count 14
		.amdhsa_user_sgpr_dispatch_ptr 0
		.amdhsa_user_sgpr_queue_ptr 0
		.amdhsa_user_sgpr_kernarg_segment_ptr 1
		.amdhsa_user_sgpr_dispatch_id 0
		.amdhsa_user_sgpr_private_segment_size 0
		.amdhsa_wavefront_size32 1
		.amdhsa_uses_dynamic_stack 0
		.amdhsa_enable_private_segment 0
		.amdhsa_system_sgpr_workgroup_id_x 1
		.amdhsa_system_sgpr_workgroup_id_y 1
		.amdhsa_system_sgpr_workgroup_id_z 0
		.amdhsa_system_sgpr_workgroup_info 0
		.amdhsa_system_vgpr_workitem_id 1
		.amdhsa_next_free_vgpr 52
		.amdhsa_next_free_sgpr 40
		.amdhsa_reserve_vcc 1
		.amdhsa_float_round_mode_32 0
		.amdhsa_float_round_mode_16_64 0
		.amdhsa_float_denorm_mode_32 3
		.amdhsa_float_denorm_mode_16_64 3
		.amdhsa_dx10_clamp 1
		.amdhsa_ieee_mode 1
		.amdhsa_fp16_overflow 0
		.amdhsa_workgroup_processor_mode 1
		.amdhsa_memory_ordered 1
		.amdhsa_forward_progress 0
		.amdhsa_shared_vgpr_count 0
		.amdhsa_exception_fp_ieee_invalid_op 0
		.amdhsa_exception_fp_denorm_src 0
		.amdhsa_exception_fp_ieee_div_zero 0
		.amdhsa_exception_fp_ieee_overflow 0
		.amdhsa_exception_fp_ieee_underflow 0
		.amdhsa_exception_fp_ieee_inexact 0
		.amdhsa_exception_int_div_zero 0
	.end_amdhsa_kernel
	.section	.text._ZN9rocsparseL29bsrmm_general_blockdim_kernelILj32ELj32Ell21rocsparse_complex_numIfES2_S2_S2_EEvb20rocsparse_direction_T2_S4_llNS_24const_host_device_scalarIT6_EEPKT1_PKS4_PKT3_S4_PKT4_llS7_PT5_ll16rocsparse_order_21rocsparse_index_base_b,"axG",@progbits,_ZN9rocsparseL29bsrmm_general_blockdim_kernelILj32ELj32Ell21rocsparse_complex_numIfES2_S2_S2_EEvb20rocsparse_direction_T2_S4_llNS_24const_host_device_scalarIT6_EEPKT1_PKS4_PKT3_S4_PKT4_llS7_PT5_ll16rocsparse_order_21rocsparse_index_base_b,comdat
.Lfunc_end8:
	.size	_ZN9rocsparseL29bsrmm_general_blockdim_kernelILj32ELj32Ell21rocsparse_complex_numIfES2_S2_S2_EEvb20rocsparse_direction_T2_S4_llNS_24const_host_device_scalarIT6_EEPKT1_PKS4_PKT3_S4_PKT4_llS7_PT5_ll16rocsparse_order_21rocsparse_index_base_b, .Lfunc_end8-_ZN9rocsparseL29bsrmm_general_blockdim_kernelILj32ELj32Ell21rocsparse_complex_numIfES2_S2_S2_EEvb20rocsparse_direction_T2_S4_llNS_24const_host_device_scalarIT6_EEPKT1_PKS4_PKT3_S4_PKT4_llS7_PT5_ll16rocsparse_order_21rocsparse_index_base_b
                                        ; -- End function
	.section	.AMDGPU.csdata,"",@progbits
; Kernel info:
; codeLenInByte = 2620
; NumSgprs: 42
; NumVgprs: 52
; ScratchSize: 0
; MemoryBound: 0
; FloatMode: 240
; IeeeMode: 1
; LDSByteSize: 16384 bytes/workgroup (compile time only)
; SGPRBlocks: 5
; VGPRBlocks: 6
; NumSGPRsForWavesPerEU: 42
; NumVGPRsForWavesPerEU: 52
; Occupancy: 16
; WaveLimiterHint : 1
; COMPUTE_PGM_RSRC2:SCRATCH_EN: 0
; COMPUTE_PGM_RSRC2:USER_SGPR: 14
; COMPUTE_PGM_RSRC2:TRAP_HANDLER: 0
; COMPUTE_PGM_RSRC2:TGID_X_EN: 1
; COMPUTE_PGM_RSRC2:TGID_Y_EN: 1
; COMPUTE_PGM_RSRC2:TGID_Z_EN: 0
; COMPUTE_PGM_RSRC2:TIDIG_COMP_CNT: 1
	.section	.text._ZN9rocsparseL29bsrmm_general_blockdim_kernelILj32ELj32Eii21rocsparse_complex_numIdES2_S2_S2_EEvb20rocsparse_direction_T2_S4_llNS_24const_host_device_scalarIT6_EEPKT1_PKS4_PKT3_S4_PKT4_llS7_PT5_ll16rocsparse_order_21rocsparse_index_base_b,"axG",@progbits,_ZN9rocsparseL29bsrmm_general_blockdim_kernelILj32ELj32Eii21rocsparse_complex_numIdES2_S2_S2_EEvb20rocsparse_direction_T2_S4_llNS_24const_host_device_scalarIT6_EEPKT1_PKS4_PKT3_S4_PKT4_llS7_PT5_ll16rocsparse_order_21rocsparse_index_base_b,comdat
	.globl	_ZN9rocsparseL29bsrmm_general_blockdim_kernelILj32ELj32Eii21rocsparse_complex_numIdES2_S2_S2_EEvb20rocsparse_direction_T2_S4_llNS_24const_host_device_scalarIT6_EEPKT1_PKS4_PKT3_S4_PKT4_llS7_PT5_ll16rocsparse_order_21rocsparse_index_base_b ; -- Begin function _ZN9rocsparseL29bsrmm_general_blockdim_kernelILj32ELj32Eii21rocsparse_complex_numIdES2_S2_S2_EEvb20rocsparse_direction_T2_S4_llNS_24const_host_device_scalarIT6_EEPKT1_PKS4_PKT3_S4_PKT4_llS7_PT5_ll16rocsparse_order_21rocsparse_index_base_b
	.p2align	8
	.type	_ZN9rocsparseL29bsrmm_general_blockdim_kernelILj32ELj32Eii21rocsparse_complex_numIdES2_S2_S2_EEvb20rocsparse_direction_T2_S4_llNS_24const_host_device_scalarIT6_EEPKT1_PKS4_PKT3_S4_PKT4_llS7_PT5_ll16rocsparse_order_21rocsparse_index_base_b,@function
_ZN9rocsparseL29bsrmm_general_blockdim_kernelILj32ELj32Eii21rocsparse_complex_numIdES2_S2_S2_EEvb20rocsparse_direction_T2_S4_llNS_24const_host_device_scalarIT6_EEPKT1_PKS4_PKT3_S4_PKT4_llS7_PT5_ll16rocsparse_order_21rocsparse_index_base_b: ; @_ZN9rocsparseL29bsrmm_general_blockdim_kernelILj32ELj32Eii21rocsparse_complex_numIdES2_S2_S2_EEvb20rocsparse_direction_T2_S4_llNS_24const_host_device_scalarIT6_EEPKT1_PKS4_PKT3_S4_PKT4_llS7_PT5_ll16rocsparse_order_21rocsparse_index_base_b
; %bb.0:
	s_clause 0x1
	s_load_b128 s[8:11], s[2:3], 0x90
	s_load_b128 s[16:19], s[2:3], 0x20
	s_load_b64 s[6:7], s[0:1], 0x4
	s_mov_b64 s[0:1], src_shared_base
	v_and_b32_e32 v19, 0x3ff, v0
	s_load_b128 s[20:23], s[2:3], 0x68
	v_bfe_u32 v20, v0, 10, 10
	v_bfe_u32 v0, v0, 20, 10
	s_mov_b32 s4, s15
	s_waitcnt lgkmcnt(0)
	s_bitcmp1_b32 s10, 0
	s_cselect_b32 s0, -1, 0
	s_delay_alu instid0(SALU_CYCLE_1) | instskip(SKIP_4) | instid1(SALU_CYCLE_1)
	s_and_b32 vcc_lo, s0, exec_lo
	s_cselect_b32 s5, s1, s17
	s_lshr_b32 s6, s6, 16
	v_dual_mov_b32 v2, s20 :: v_dual_mov_b32 v3, s21
	s_mul_i32 s6, s6, s7
	v_mul_lo_u32 v1, s6, v19
	s_delay_alu instid0(VALU_DEP_1) | instskip(NEXT) | instid1(VALU_DEP_1)
	v_mad_u32_u24 v1, v20, s7, v1
	v_add_lshl_u32 v6, v1, v0, 3
	v_dual_mov_b32 v0, s16 :: v_dual_mov_b32 v5, s5
	v_mov_b32_e32 v1, s17
	s_xor_b32 s5, s0, -1
	s_delay_alu instid0(VALU_DEP_3)
	v_add_nc_u32_e32 v4, 0xa000, v6
	ds_store_2addr_stride64_b64 v6, v[2:3], v[0:1] offset0:64 offset1:80
	v_add_nc_u32_e32 v0, 0x8000, v6
	v_cndmask_b32_e64 v4, s16, v4, s0
	v_dual_mov_b32 v6, s18 :: v_dual_mov_b32 v7, s19
	flat_load_b64 v[4:5], v[4:5]
	s_cbranch_vccnz .LBB9_2
; %bb.1:
	v_dual_mov_b32 v1, s16 :: v_dual_mov_b32 v2, s17
	flat_load_b64 v[6:7], v[1:2] offset:8
.LBB9_2:
	s_and_b32 s6, s0, exec_lo
	s_cselect_b32 s1, s1, s21
	v_cndmask_b32_e64 v0, s20, v0, s0
	v_dual_mov_b32 v1, s1 :: v_dual_mov_b32 v10, s22
	v_mov_b32_e32 v11, s23
	s_and_not1_b32 vcc_lo, exec_lo, s5
	flat_load_b64 v[8:9], v[0:1]
	s_cbranch_vccnz .LBB9_4
; %bb.3:
	v_dual_mov_b32 v0, s20 :: v_dual_mov_b32 v1, s21
	flat_load_b64 v[10:11], v[0:1] offset:8
.LBB9_4:
	s_waitcnt vmcnt(1) lgkmcnt(1)
	v_cmp_eq_f64_e32 vcc_lo, 0, v[4:5]
	v_cmp_eq_f64_e64 s0, 0, v[6:7]
	s_delay_alu instid0(VALU_DEP_1)
	s_and_b32 s5, vcc_lo, s0
	s_mov_b32 s0, -1
	s_and_saveexec_b32 s1, s5
	s_cbranch_execz .LBB9_6
; %bb.5:
	s_waitcnt vmcnt(0) lgkmcnt(0)
	v_cmp_neq_f64_e32 vcc_lo, 1.0, v[8:9]
	v_cmp_neq_f64_e64 s0, 0, v[10:11]
	s_delay_alu instid0(VALU_DEP_1) | instskip(NEXT) | instid1(SALU_CYCLE_1)
	s_or_b32 s0, vcc_lo, s0
	s_or_not1_b32 s0, s0, exec_lo
.LBB9_6:
	s_or_b32 exec_lo, exec_lo, s1
	s_and_saveexec_b32 s1, s0
	s_cbranch_execz .LBB9_60
; %bb.7:
	s_clause 0x1
	s_load_b128 s[24:27], s[2:3], 0x0
	s_load_b64 s[0:1], s[2:3], 0x30
	s_mov_b32 s12, 0
	s_mov_b32 s13, 0
	s_waitcnt lgkmcnt(0)
	s_cmp_lt_i32 s14, s26
	s_cselect_b32 s10, -1, 0
	s_cmp_ge_i32 s14, s26
	s_cbranch_scc0 .LBB9_10
; %bb.8:
	s_and_not1_b32 vcc_lo, exec_lo, s10
	s_cbranch_vccz .LBB9_11
.LBB9_9:
	s_load_b32 s15, s[2:3], 0x48
	s_waitcnt lgkmcnt(0)
	s_cmp_lt_i32 s15, 1
	s_cbranch_scc0 .LBB9_12
	s_branch .LBB9_60
.LBB9_10:
	s_ashr_i32 s15, s14, 31
	s_delay_alu instid0(SALU_CYCLE_1) | instskip(NEXT) | instid1(SALU_CYCLE_1)
	s_lshl_b64 s[6:7], s[14:15], 2
	s_add_u32 s6, s0, s6
	s_addc_u32 s7, s1, s7
	s_load_b32 s5, s[6:7], 0x0
	s_waitcnt lgkmcnt(0)
	s_sub_i32 s13, s5, s9
	s_and_not1_b32 vcc_lo, exec_lo, s10
	s_cbranch_vccnz .LBB9_9
.LBB9_11:
	s_ashr_i32 s15, s14, 31
	s_delay_alu instid0(SALU_CYCLE_1) | instskip(NEXT) | instid1(SALU_CYCLE_1)
	s_lshl_b64 s[6:7], s[14:15], 2
	s_add_u32 s0, s0, s6
	s_addc_u32 s1, s1, s7
	s_load_b32 s0, s[0:1], 0x4
	s_waitcnt lgkmcnt(0)
	s_sub_i32 s12, s0, s9
	s_load_b32 s15, s[2:3], 0x48
	s_waitcnt lgkmcnt(0)
	s_cmp_lt_i32 s15, 1
	s_cbranch_scc1 .LBB9_60
.LBB9_12:
	s_load_b128 s[16:19], s[2:3], 0x50
	s_waitcnt vmcnt(0)
	v_cmp_neq_f64_e32 vcc_lo, 0, v[8:9]
	v_cmp_neq_f64_e64 s1, 0, v[10:11]
	s_load_b128 s[20:23], s[2:3], 0x78
	v_lshl_add_u32 v0, s4, 5, v20
	s_load_b128 s[4:7], s[2:3], 0x38
	v_lshlrev_b32_e32 v12, 5, v20
	s_bitcmp1_b32 s24, 0
	v_lshlrev_b32_e32 v31, 4, v19
	v_ashrrev_i32_e32 v1, 31, v0
	s_cselect_b32 s0, -1, 0
	v_add_lshl_u32 v21, v12, v19, 4
	s_xor_b32 s24, s0, -1
	v_cmp_gt_i32_e64 s0, s27, v0
	v_lshlrev_b64 v[12:13], 4, v[0:1]
	s_cmp_lt_i32 s13, s12
	v_add_nc_u32_e32 v22, 0x4000, v21
	s_cselect_b32 s26, -1, 0
	s_cmp_lg_u32 s25, 0
	v_lshl_add_u32 v32, v20, 9, 0x4000
	s_waitcnt lgkmcnt(0)
	v_mul_lo_u32 v14, v1, s18
	v_mul_lo_u32 v15, v0, s19
	v_mad_u64_u32 v[2:3], null, v0, s18, 0
	v_mul_lo_u32 v16, v1, s22
	v_mul_lo_u32 v17, v0, s23
	v_add_co_u32 v23, s2, s16, v12
	s_delay_alu instid0(VALU_DEP_1) | instskip(SKIP_4) | instid1(VALU_DEP_2)
	v_add_co_ci_u32_e64 v24, s2, s17, v13, s2
	v_add3_u32 v3, v3, v15, v14
	v_mad_u64_u32 v[14:15], null, v0, s22, 0
	s_cselect_b32 s25, -1, 0
	s_and_b32 s27, s10, s0
	v_lshlrev_b64 v[0:1], 4, v[2:3]
	s_mul_i32 s14, s14, s15
	s_delay_alu instid0(VALU_DEP_2) | instskip(NEXT) | instid1(VALU_DEP_2)
	v_add3_u32 v15, v15, v17, v16
	v_add_co_u32 v25, s2, s16, v0
	s_delay_alu instid0(VALU_DEP_1) | instskip(NEXT) | instid1(VALU_DEP_3)
	v_add_co_ci_u32_e64 v26, s2, s17, v1, s2
	v_lshlrev_b64 v[0:1], 4, v[14:15]
	s_or_b32 s16, vcc_lo, s1
	v_add_co_u32 v27, vcc_lo, s20, v12
	v_add_co_ci_u32_e32 v28, vcc_lo, s21, v13, vcc_lo
	s_delay_alu instid0(VALU_DEP_3) | instskip(NEXT) | instid1(VALU_DEP_4)
	v_add_co_u32 v29, vcc_lo, s20, v0
	v_add_co_ci_u32_e32 v30, vcc_lo, s21, v1, vcc_lo
	s_cmp_lg_u32 s8, 1
	s_mov_b32 s8, 0
	s_cselect_b32 s17, -1, 0
	s_branch .LBB9_14
.LBB9_13:                               ;   in Loop: Header=BB9_14 Depth=1
	s_or_b32 exec_lo, exec_lo, s1
	s_add_i32 s8, s8, 32
	s_delay_alu instid0(SALU_CYCLE_1)
	s_cmp_lt_i32 s8, s15
	s_cbranch_scc0 .LBB9_60
.LBB9_14:                               ; =>This Loop Header: Depth=1
                                        ;     Child Loop BB9_16 Depth 2
                                        ;       Child Loop BB9_17 Depth 3
                                        ;         Child Loop BB9_46 Depth 4
	v_mov_b32_e32 v12, 0
	v_dual_mov_b32 v13, 0 :: v_dual_add_nc_u32 v16, s8, v19
	s_and_not1_b32 vcc_lo, exec_lo, s26
	s_delay_alu instid0(VALU_DEP_1) | instskip(NEXT) | instid1(VALU_DEP_2)
	v_cmp_gt_i32_e64 s1, s15, v16
	v_dual_mov_b32 v15, v13 :: v_dual_mov_b32 v14, v12
	s_cbranch_vccnz .LBB9_49
; %bb.15:                               ;   in Loop: Header=BB9_14 Depth=1
	v_mov_b32_e32 v12, 0
	v_mov_b32_e32 v13, 0
	s_mov_b32 s2, s13
	s_delay_alu instid0(VALU_DEP_1)
	v_dual_mov_b32 v15, v13 :: v_dual_mov_b32 v14, v12
.LBB9_16:                               ;   Parent Loop BB9_14 Depth=1
                                        ; =>  This Loop Header: Depth=2
                                        ;       Child Loop BB9_17 Depth 3
                                        ;         Child Loop BB9_46 Depth 4
	s_ashr_i32 s3, s2, 31
	s_mov_b32 s21, 0
	s_lshl_b64 s[10:11], s[2:3], 2
	s_mul_i32 s3, s2, s15
	s_add_u32 s10, s4, s10
	s_addc_u32 s11, s5, s11
	v_add_nc_u32_e32 v0, s3, v16
	s_load_b32 s10, s[10:11], 0x0
	s_delay_alu instid0(VALU_DEP_1) | instskip(SKIP_2) | instid1(SALU_CYCLE_1)
	v_mul_lo_u32 v33, v0, s15
	s_waitcnt lgkmcnt(0)
	s_sub_i32 s20, s10, s9
	s_mul_i32 s20, s20, s15
.LBB9_17:                               ;   Parent Loop BB9_14 Depth=1
                                        ;     Parent Loop BB9_16 Depth=2
                                        ; =>    This Loop Header: Depth=3
                                        ;         Child Loop BB9_46 Depth 4
	s_and_b32 vcc_lo, exec_lo, s24
	s_cbranch_vccz .LBB9_23
; %bb.18:                               ;   in Loop: Header=BB9_17 Depth=3
	s_mov_b32 s29, 0
	s_mov_b32 s28, 0
                                        ; implicit-def: $vgpr17_vgpr18
	s_and_saveexec_b32 s10, s0
	s_cbranch_execz .LBB9_22
; %bb.19:                               ;   in Loop: Header=BB9_17 Depth=3
	v_add_nc_u32_e32 v0, s21, v19
	s_mov_b32 s11, 0
	s_mov_b32 s28, exec_lo
                                        ; implicit-def: $vgpr17_vgpr18
	s_delay_alu instid0(VALU_DEP_1)
	v_cmpx_gt_i32_e64 s15, v0
	s_xor_b32 s28, exec_lo, s28
; %bb.20:                               ;   in Loop: Header=BB9_17 Depth=3
	v_add_nc_u32_e32 v2, s20, v0
	s_mov_b32 s11, exec_lo
	s_delay_alu instid0(VALU_DEP_1) | instskip(SKIP_2) | instid1(VALU_DEP_3)
	v_ashrrev_i32_e32 v3, 31, v2
	v_mul_lo_u32 v17, v2, s19
	v_mad_u64_u32 v[0:1], null, v2, s18, 0
	v_mul_lo_u32 v2, v3, s18
	s_delay_alu instid0(VALU_DEP_1) | instskip(NEXT) | instid1(VALU_DEP_1)
	v_add3_u32 v1, v1, v17, v2
	v_lshlrev_b64 v[0:1], 4, v[0:1]
	s_delay_alu instid0(VALU_DEP_1) | instskip(NEXT) | instid1(VALU_DEP_2)
	v_add_co_u32 v17, vcc_lo, v23, v0
	v_add_co_ci_u32_e32 v18, vcc_lo, v24, v1, vcc_lo
; %bb.21:                               ;   in Loop: Header=BB9_17 Depth=3
	s_or_b32 exec_lo, exec_lo, s28
	s_delay_alu instid0(SALU_CYCLE_1)
	s_and_b32 s28, s11, exec_lo
.LBB9_22:                               ;   in Loop: Header=BB9_17 Depth=3
	s_or_b32 exec_lo, exec_lo, s10
	s_mov_b64 s[10:11], 0
	s_and_b32 vcc_lo, exec_lo, s29
	s_cbranch_vccnz .LBB9_24
	s_branch .LBB9_29
.LBB9_23:                               ;   in Loop: Header=BB9_17 Depth=3
	s_mov_b32 s28, 0
                                        ; implicit-def: $vgpr17_vgpr18
                                        ; implicit-def: $sgpr10_sgpr11
	s_cbranch_execz .LBB9_29
.LBB9_24:                               ;   in Loop: Header=BB9_17 Depth=3
                                        ; implicit-def: $vgpr17_vgpr18
	s_and_saveexec_b32 s10, s0
	s_cbranch_execz .LBB9_28
; %bb.25:                               ;   in Loop: Header=BB9_17 Depth=3
	v_add_nc_u32_e32 v0, s21, v19
	s_mov_b32 s29, s28
	s_mov_b32 s11, exec_lo
                                        ; implicit-def: $vgpr17_vgpr18
	s_delay_alu instid0(VALU_DEP_1)
	v_cmpx_gt_i32_e64 s15, v0
; %bb.26:                               ;   in Loop: Header=BB9_17 Depth=3
	v_add_nc_u32_e32 v0, s20, v0
	s_or_b32 s29, s28, exec_lo
	s_delay_alu instid0(VALU_DEP_1) | instskip(NEXT) | instid1(VALU_DEP_1)
	v_ashrrev_i32_e32 v1, 31, v0
	v_lshlrev_b64 v[0:1], 4, v[0:1]
	s_delay_alu instid0(VALU_DEP_1) | instskip(NEXT) | instid1(VALU_DEP_2)
	v_add_co_u32 v17, vcc_lo, v25, v0
	v_add_co_ci_u32_e32 v18, vcc_lo, v26, v1, vcc_lo
; %bb.27:                               ;   in Loop: Header=BB9_17 Depth=3
	s_or_b32 exec_lo, exec_lo, s11
	s_delay_alu instid0(SALU_CYCLE_1) | instskip(SKIP_1) | instid1(SALU_CYCLE_1)
	s_and_not1_b32 s11, s28, exec_lo
	s_and_b32 s28, s29, exec_lo
	s_or_b32 s28, s11, s28
.LBB9_28:                               ;   in Loop: Header=BB9_17 Depth=3
	s_or_b32 exec_lo, exec_lo, s10
	s_mov_b64 s[10:11], 0
.LBB9_29:                               ;   in Loop: Header=BB9_17 Depth=3
	s_delay_alu instid0(SALU_CYCLE_1)
	v_dual_mov_b32 v0, s10 :: v_dual_mov_b32 v1, s11
	v_dual_mov_b32 v2, s10 :: v_dual_mov_b32 v3, s11
	s_and_saveexec_b32 s10, s28
	s_cbranch_execz .LBB9_31
; %bb.30:                               ;   in Loop: Header=BB9_17 Depth=3
	global_load_b128 v[0:3], v[17:18], off
.LBB9_31:                               ;   in Loop: Header=BB9_17 Depth=3
	s_or_b32 exec_lo, exec_lo, s10
	s_delay_alu instid0(SALU_CYCLE_1)
	s_and_b32 vcc_lo, exec_lo, s25
	s_waitcnt vmcnt(0)
	ds_store_b128 v22, v[0:3]
	s_cbranch_vccz .LBB9_37
; %bb.32:                               ;   in Loop: Header=BB9_17 Depth=3
	s_mov_b32 s29, 0
	s_mov_b32 s28, 0
                                        ; implicit-def: $vgpr17
	s_and_saveexec_b32 s10, s1
	s_cbranch_execz .LBB9_36
; %bb.33:                               ;   in Loop: Header=BB9_17 Depth=3
	v_add_nc_u32_e32 v0, s21, v20
	s_mov_b32 s11, 0
	s_mov_b32 s28, exec_lo
                                        ; implicit-def: $vgpr17
	s_delay_alu instid0(VALU_DEP_1)
	v_cmpx_gt_i32_e64 s15, v0
	s_xor_b32 s28, exec_lo, s28
; %bb.34:                               ;   in Loop: Header=BB9_17 Depth=3
	v_add_nc_u32_e32 v0, s3, v0
	s_mov_b32 s11, exec_lo
	s_delay_alu instid0(VALU_DEP_1)
	v_mad_u64_u32 v[17:18], null, v0, s15, v[16:17]
; %bb.35:                               ;   in Loop: Header=BB9_17 Depth=3
	s_or_b32 exec_lo, exec_lo, s28
	s_delay_alu instid0(SALU_CYCLE_1)
	s_and_b32 s28, s11, exec_lo
.LBB9_36:                               ;   in Loop: Header=BB9_17 Depth=3
	s_or_b32 exec_lo, exec_lo, s10
	s_mov_b64 s[10:11], 0
	s_and_b32 vcc_lo, exec_lo, s29
	s_cbranch_vccnz .LBB9_38
	s_branch .LBB9_43
.LBB9_37:                               ;   in Loop: Header=BB9_17 Depth=3
	s_mov_b32 s28, 0
                                        ; implicit-def: $vgpr17
                                        ; implicit-def: $sgpr10_sgpr11
	s_cbranch_execz .LBB9_43
.LBB9_38:                               ;   in Loop: Header=BB9_17 Depth=3
                                        ; implicit-def: $vgpr17
	s_and_saveexec_b32 s10, s1
	s_cbranch_execz .LBB9_42
; %bb.39:                               ;   in Loop: Header=BB9_17 Depth=3
	v_add_nc_u32_e32 v0, s21, v20
	s_mov_b32 s11, s28
	s_mov_b32 s29, exec_lo
                                        ; implicit-def: $vgpr17
	s_delay_alu instid0(VALU_DEP_1)
	v_cmpx_gt_i32_e64 s15, v0
; %bb.40:                               ;   in Loop: Header=BB9_17 Depth=3
	v_add_nc_u32_e32 v17, v0, v33
	s_or_b32 s11, s28, exec_lo
; %bb.41:                               ;   in Loop: Header=BB9_17 Depth=3
	s_or_b32 exec_lo, exec_lo, s29
	s_delay_alu instid0(SALU_CYCLE_1) | instskip(SKIP_1) | instid1(SALU_CYCLE_1)
	s_and_not1_b32 s28, s28, exec_lo
	s_and_b32 s11, s11, exec_lo
	s_or_b32 s28, s28, s11
.LBB9_42:                               ;   in Loop: Header=BB9_17 Depth=3
	s_or_b32 exec_lo, exec_lo, s10
	s_mov_b64 s[10:11], 0
.LBB9_43:                               ;   in Loop: Header=BB9_17 Depth=3
	s_delay_alu instid0(SALU_CYCLE_1)
	v_dual_mov_b32 v0, s10 :: v_dual_mov_b32 v1, s11
	v_dual_mov_b32 v2, s10 :: v_dual_mov_b32 v3, s11
	s_and_saveexec_b32 s10, s28
	s_cbranch_execz .LBB9_45
; %bb.44:                               ;   in Loop: Header=BB9_17 Depth=3
	v_ashrrev_i32_e32 v18, 31, v17
	s_delay_alu instid0(VALU_DEP_1) | instskip(NEXT) | instid1(VALU_DEP_1)
	v_lshlrev_b64 v[0:1], 4, v[17:18]
	v_add_co_u32 v0, vcc_lo, s6, v0
	s_delay_alu instid0(VALU_DEP_2)
	v_add_co_ci_u32_e32 v1, vcc_lo, s7, v1, vcc_lo
	global_load_b128 v[0:3], v[0:1], off
.LBB9_45:                               ;   in Loop: Header=BB9_17 Depth=3
	s_or_b32 exec_lo, exec_lo, s10
	s_waitcnt vmcnt(0)
	ds_store_b128 v21, v[0:3]
	v_mov_b32_e32 v0, v31
	s_mov_b32 s10, 0
	s_waitcnt lgkmcnt(0)
	s_waitcnt_vscnt null, 0x0
	s_barrier
	buffer_gl0_inv
.LBB9_46:                               ;   Parent Loop BB9_14 Depth=1
                                        ;     Parent Loop BB9_16 Depth=2
                                        ;       Parent Loop BB9_17 Depth=3
                                        ; =>      This Inner Loop Header: Depth=4
	v_add_nc_u32_e32 v3, s10, v32
	s_add_i32 s10, s10, 64
	ds_load_b128 v[34:37], v0
	ds_load_b128 v[38:41], v3
	ds_load_b128 v[42:45], v0 offset:512
	ds_load_b128 v[46:49], v3 offset:16
	s_cmpk_eq_i32 s10, 0x200
	s_waitcnt lgkmcnt(2)
	v_fma_f64 v[1:2], v[34:35], v[38:39], v[14:15]
	v_fma_f64 v[12:13], v[36:37], v[38:39], v[12:13]
	s_delay_alu instid0(VALU_DEP_2) | instskip(NEXT) | instid1(VALU_DEP_2)
	v_fma_f64 v[1:2], -v[36:37], v[40:41], v[1:2]
	v_fma_f64 v[12:13], v[34:35], v[40:41], v[12:13]
	s_waitcnt lgkmcnt(0)
	s_delay_alu instid0(VALU_DEP_2) | instskip(NEXT) | instid1(VALU_DEP_2)
	v_fma_f64 v[1:2], v[42:43], v[46:47], v[1:2]
	v_fma_f64 v[12:13], v[44:45], v[46:47], v[12:13]
	s_delay_alu instid0(VALU_DEP_2) | instskip(NEXT) | instid1(VALU_DEP_2)
	v_fma_f64 v[1:2], -v[44:45], v[48:49], v[1:2]
	v_fma_f64 v[17:18], v[42:43], v[48:49], v[12:13]
	ds_load_b128 v[12:15], v0 offset:1024
	ds_load_b128 v[34:37], v3 offset:32
	;; [unrolled: 1-line block ×4, first 2 shown]
	v_add_nc_u32_e32 v0, 0x800, v0
	s_waitcnt lgkmcnt(2)
	v_fma_f64 v[1:2], v[12:13], v[34:35], v[1:2]
	v_fma_f64 v[17:18], v[14:15], v[34:35], v[17:18]
	s_delay_alu instid0(VALU_DEP_2) | instskip(NEXT) | instid1(VALU_DEP_2)
	v_fma_f64 v[1:2], -v[14:15], v[36:37], v[1:2]
	v_fma_f64 v[12:13], v[12:13], v[36:37], v[17:18]
	s_waitcnt lgkmcnt(0)
	s_delay_alu instid0(VALU_DEP_2) | instskip(NEXT) | instid1(VALU_DEP_2)
	v_fma_f64 v[1:2], v[38:39], v[42:43], v[1:2]
	v_fma_f64 v[12:13], v[40:41], v[42:43], v[12:13]
	s_delay_alu instid0(VALU_DEP_2) | instskip(NEXT) | instid1(VALU_DEP_2)
	v_fma_f64 v[14:15], -v[40:41], v[44:45], v[1:2]
	v_fma_f64 v[12:13], v[38:39], v[44:45], v[12:13]
	s_cbranch_scc0 .LBB9_46
; %bb.47:                               ;   in Loop: Header=BB9_17 Depth=3
	s_add_i32 s21, s21, 32
	s_delay_alu instid0(SALU_CYCLE_1)
	s_cmp_ge_i32 s21, s15
	s_barrier
	buffer_gl0_inv
	s_cbranch_scc0 .LBB9_17
; %bb.48:                               ;   in Loop: Header=BB9_16 Depth=2
	s_add_i32 s2, s2, 1
	s_delay_alu instid0(SALU_CYCLE_1)
	s_cmp_ge_i32 s2, s12
	s_cbranch_scc0 .LBB9_16
.LBB9_49:                               ;   in Loop: Header=BB9_14 Depth=1
	v_cmp_gt_i32_e32 vcc_lo, s15, v16
	s_and_b32 s2, s27, vcc_lo
	s_delay_alu instid0(SALU_CYCLE_1)
	s_and_saveexec_b32 s1, s2
	s_cbranch_execz .LBB9_13
; %bb.50:                               ;   in Loop: Header=BB9_14 Depth=1
	v_add_nc_u32_e32 v16, s14, v16
	s_delay_alu instid0(VALU_DEP_1) | instskip(SKIP_1) | instid1(SALU_CYCLE_1)
	v_ashrrev_i32_e32 v17, 31, v16
	s_and_saveexec_b32 s2, s16
	s_xor_b32 s2, exec_lo, s2
	s_cbranch_execz .LBB9_55
; %bb.51:                               ;   in Loop: Header=BB9_14 Depth=1
	s_and_b32 vcc_lo, exec_lo, s17
	s_mov_b32 s3, -1
	s_cbranch_vccz .LBB9_53
; %bb.52:                               ;   in Loop: Header=BB9_14 Depth=1
	v_mul_lo_u32 v2, v17, s22
	v_mul_lo_u32 v3, v16, s23
	v_mad_u64_u32 v[0:1], null, v16, s22, 0
	v_mul_f64 v[35:36], v[12:13], -v[6:7]
	v_mul_f64 v[37:38], v[4:5], v[12:13]
	s_mov_b32 s3, 0
	s_delay_alu instid0(VALU_DEP_3) | instskip(NEXT) | instid1(VALU_DEP_1)
	v_add3_u32 v1, v1, v3, v2
	v_lshlrev_b64 v[0:1], 4, v[0:1]
	s_delay_alu instid0(VALU_DEP_1) | instskip(NEXT) | instid1(VALU_DEP_2)
	v_add_co_u32 v33, vcc_lo, v27, v0
	v_add_co_ci_u32_e32 v34, vcc_lo, v28, v1, vcc_lo
	global_load_b128 v[0:3], v[33:34], off
	v_fma_f64 v[35:36], v[4:5], v[14:15], v[35:36]
	v_fma_f64 v[37:38], v[6:7], v[14:15], v[37:38]
	s_waitcnt vmcnt(0)
	s_delay_alu instid0(VALU_DEP_2) | instskip(NEXT) | instid1(VALU_DEP_2)
	v_fma_f64 v[35:36], v[8:9], v[0:1], v[35:36]
	v_fma_f64 v[37:38], v[10:11], v[0:1], v[37:38]
	s_delay_alu instid0(VALU_DEP_2) | instskip(NEXT) | instid1(VALU_DEP_2)
	v_fma_f64 v[0:1], -v[10:11], v[2:3], v[35:36]
	v_fma_f64 v[2:3], v[8:9], v[2:3], v[37:38]
	global_store_b128 v[33:34], v[0:3], off
.LBB9_53:                               ;   in Loop: Header=BB9_14 Depth=1
	s_and_not1_b32 vcc_lo, exec_lo, s3
	s_cbranch_vccnz .LBB9_55
; %bb.54:                               ;   in Loop: Header=BB9_14 Depth=1
	v_lshlrev_b64 v[0:1], 4, v[16:17]
	v_mul_f64 v[33:34], v[12:13], -v[6:7]
	v_mul_f64 v[12:13], v[4:5], v[12:13]
	s_delay_alu instid0(VALU_DEP_3) | instskip(NEXT) | instid1(VALU_DEP_4)
	v_add_co_u32 v16, vcc_lo, v29, v0
	v_add_co_ci_u32_e32 v17, vcc_lo, v30, v1, vcc_lo
	global_load_b128 v[0:3], v[16:17], off
	v_fma_f64 v[33:34], v[4:5], v[14:15], v[33:34]
	v_fma_f64 v[12:13], v[6:7], v[14:15], v[12:13]
	s_waitcnt vmcnt(0)
	s_delay_alu instid0(VALU_DEP_2) | instskip(NEXT) | instid1(VALU_DEP_2)
	v_fma_f64 v[14:15], v[8:9], v[0:1], v[33:34]
	v_fma_f64 v[12:13], v[10:11], v[0:1], v[12:13]
	s_delay_alu instid0(VALU_DEP_2) | instskip(NEXT) | instid1(VALU_DEP_2)
	v_fma_f64 v[0:1], -v[10:11], v[2:3], v[14:15]
	v_fma_f64 v[2:3], v[8:9], v[2:3], v[12:13]
                                        ; implicit-def: $vgpr12_vgpr13
                                        ; implicit-def: $vgpr14_vgpr15
	global_store_b128 v[16:17], v[0:3], off
                                        ; implicit-def: $vgpr16
.LBB9_55:                               ;   in Loop: Header=BB9_14 Depth=1
	s_and_not1_saveexec_b32 s2, s2
	s_cbranch_execz .LBB9_13
; %bb.56:                               ;   in Loop: Header=BB9_14 Depth=1
	v_mul_f64 v[0:1], v[12:13], -v[6:7]
	v_mul_f64 v[2:3], v[4:5], v[12:13]
	s_and_b32 vcc_lo, exec_lo, s17
	s_mov_b32 s2, -1
	s_delay_alu instid0(VALU_DEP_2) | instskip(NEXT) | instid1(VALU_DEP_2)
	v_fma_f64 v[0:1], v[4:5], v[14:15], v[0:1]
	v_fma_f64 v[2:3], v[6:7], v[14:15], v[2:3]
	s_cbranch_vccz .LBB9_58
; %bb.57:                               ;   in Loop: Header=BB9_14 Depth=1
	v_mul_lo_u32 v14, v17, s22
	v_mul_lo_u32 v15, v16, s23
	v_mad_u64_u32 v[12:13], null, v16, s22, 0
	s_mov_b32 s2, 0
	s_delay_alu instid0(VALU_DEP_1) | instskip(NEXT) | instid1(VALU_DEP_1)
	v_add3_u32 v13, v13, v15, v14
	v_lshlrev_b64 v[12:13], 4, v[12:13]
	s_delay_alu instid0(VALU_DEP_1) | instskip(NEXT) | instid1(VALU_DEP_2)
	v_add_co_u32 v12, vcc_lo, v27, v12
	v_add_co_ci_u32_e32 v13, vcc_lo, v28, v13, vcc_lo
	global_store_b128 v[12:13], v[0:3], off
.LBB9_58:                               ;   in Loop: Header=BB9_14 Depth=1
	s_and_not1_b32 vcc_lo, exec_lo, s2
	s_cbranch_vccnz .LBB9_13
; %bb.59:                               ;   in Loop: Header=BB9_14 Depth=1
	v_lshlrev_b64 v[12:13], 4, v[16:17]
	s_delay_alu instid0(VALU_DEP_1) | instskip(NEXT) | instid1(VALU_DEP_2)
	v_add_co_u32 v12, vcc_lo, v29, v12
	v_add_co_ci_u32_e32 v13, vcc_lo, v30, v13, vcc_lo
	global_store_b128 v[12:13], v[0:3], off
	s_branch .LBB9_13
.LBB9_60:
	s_nop 0
	s_sendmsg sendmsg(MSG_DEALLOC_VGPRS)
	s_endpgm
	.section	.rodata,"a",@progbits
	.p2align	6, 0x0
	.amdhsa_kernel _ZN9rocsparseL29bsrmm_general_blockdim_kernelILj32ELj32Eii21rocsparse_complex_numIdES2_S2_S2_EEvb20rocsparse_direction_T2_S4_llNS_24const_host_device_scalarIT6_EEPKT1_PKS4_PKT3_S4_PKT4_llS7_PT5_ll16rocsparse_order_21rocsparse_index_base_b
		.amdhsa_group_segment_fixed_size 49152
		.amdhsa_private_segment_fixed_size 0
		.amdhsa_kernarg_size 156
		.amdhsa_user_sgpr_count 14
		.amdhsa_user_sgpr_dispatch_ptr 1
		.amdhsa_user_sgpr_queue_ptr 0
		.amdhsa_user_sgpr_kernarg_segment_ptr 1
		.amdhsa_user_sgpr_dispatch_id 0
		.amdhsa_user_sgpr_private_segment_size 0
		.amdhsa_wavefront_size32 1
		.amdhsa_uses_dynamic_stack 0
		.amdhsa_enable_private_segment 0
		.amdhsa_system_sgpr_workgroup_id_x 1
		.amdhsa_system_sgpr_workgroup_id_y 1
		.amdhsa_system_sgpr_workgroup_id_z 0
		.amdhsa_system_sgpr_workgroup_info 0
		.amdhsa_system_vgpr_workitem_id 2
		.amdhsa_next_free_vgpr 50
		.amdhsa_next_free_sgpr 30
		.amdhsa_reserve_vcc 1
		.amdhsa_float_round_mode_32 0
		.amdhsa_float_round_mode_16_64 0
		.amdhsa_float_denorm_mode_32 3
		.amdhsa_float_denorm_mode_16_64 3
		.amdhsa_dx10_clamp 1
		.amdhsa_ieee_mode 1
		.amdhsa_fp16_overflow 0
		.amdhsa_workgroup_processor_mode 1
		.amdhsa_memory_ordered 1
		.amdhsa_forward_progress 0
		.amdhsa_shared_vgpr_count 0
		.amdhsa_exception_fp_ieee_invalid_op 0
		.amdhsa_exception_fp_denorm_src 0
		.amdhsa_exception_fp_ieee_div_zero 0
		.amdhsa_exception_fp_ieee_overflow 0
		.amdhsa_exception_fp_ieee_underflow 0
		.amdhsa_exception_fp_ieee_inexact 0
		.amdhsa_exception_int_div_zero 0
	.end_amdhsa_kernel
	.section	.text._ZN9rocsparseL29bsrmm_general_blockdim_kernelILj32ELj32Eii21rocsparse_complex_numIdES2_S2_S2_EEvb20rocsparse_direction_T2_S4_llNS_24const_host_device_scalarIT6_EEPKT1_PKS4_PKT3_S4_PKT4_llS7_PT5_ll16rocsparse_order_21rocsparse_index_base_b,"axG",@progbits,_ZN9rocsparseL29bsrmm_general_blockdim_kernelILj32ELj32Eii21rocsparse_complex_numIdES2_S2_S2_EEvb20rocsparse_direction_T2_S4_llNS_24const_host_device_scalarIT6_EEPKT1_PKS4_PKT3_S4_PKT4_llS7_PT5_ll16rocsparse_order_21rocsparse_index_base_b,comdat
.Lfunc_end9:
	.size	_ZN9rocsparseL29bsrmm_general_blockdim_kernelILj32ELj32Eii21rocsparse_complex_numIdES2_S2_S2_EEvb20rocsparse_direction_T2_S4_llNS_24const_host_device_scalarIT6_EEPKT1_PKS4_PKT3_S4_PKT4_llS7_PT5_ll16rocsparse_order_21rocsparse_index_base_b, .Lfunc_end9-_ZN9rocsparseL29bsrmm_general_blockdim_kernelILj32ELj32Eii21rocsparse_complex_numIdES2_S2_S2_EEvb20rocsparse_direction_T2_S4_llNS_24const_host_device_scalarIT6_EEPKT1_PKS4_PKT3_S4_PKT4_llS7_PT5_ll16rocsparse_order_21rocsparse_index_base_b
                                        ; -- End function
	.section	.AMDGPU.csdata,"",@progbits
; Kernel info:
; codeLenInByte = 2436
; NumSgprs: 32
; NumVgprs: 50
; ScratchSize: 0
; MemoryBound: 1
; FloatMode: 240
; IeeeMode: 1
; LDSByteSize: 49152 bytes/workgroup (compile time only)
; SGPRBlocks: 3
; VGPRBlocks: 6
; NumSGPRsForWavesPerEU: 32
; NumVGPRsForWavesPerEU: 50
; Occupancy: 16
; WaveLimiterHint : 1
; COMPUTE_PGM_RSRC2:SCRATCH_EN: 0
; COMPUTE_PGM_RSRC2:USER_SGPR: 14
; COMPUTE_PGM_RSRC2:TRAP_HANDLER: 0
; COMPUTE_PGM_RSRC2:TGID_X_EN: 1
; COMPUTE_PGM_RSRC2:TGID_Y_EN: 1
; COMPUTE_PGM_RSRC2:TGID_Z_EN: 0
; COMPUTE_PGM_RSRC2:TIDIG_COMP_CNT: 2
	.section	.text._ZN9rocsparseL29bsrmm_general_blockdim_kernelILj32ELj32Eli21rocsparse_complex_numIdES2_S2_S2_EEvb20rocsparse_direction_T2_S4_llNS_24const_host_device_scalarIT6_EEPKT1_PKS4_PKT3_S4_PKT4_llS7_PT5_ll16rocsparse_order_21rocsparse_index_base_b,"axG",@progbits,_ZN9rocsparseL29bsrmm_general_blockdim_kernelILj32ELj32Eli21rocsparse_complex_numIdES2_S2_S2_EEvb20rocsparse_direction_T2_S4_llNS_24const_host_device_scalarIT6_EEPKT1_PKS4_PKT3_S4_PKT4_llS7_PT5_ll16rocsparse_order_21rocsparse_index_base_b,comdat
	.globl	_ZN9rocsparseL29bsrmm_general_blockdim_kernelILj32ELj32Eli21rocsparse_complex_numIdES2_S2_S2_EEvb20rocsparse_direction_T2_S4_llNS_24const_host_device_scalarIT6_EEPKT1_PKS4_PKT3_S4_PKT4_llS7_PT5_ll16rocsparse_order_21rocsparse_index_base_b ; -- Begin function _ZN9rocsparseL29bsrmm_general_blockdim_kernelILj32ELj32Eli21rocsparse_complex_numIdES2_S2_S2_EEvb20rocsparse_direction_T2_S4_llNS_24const_host_device_scalarIT6_EEPKT1_PKS4_PKT3_S4_PKT4_llS7_PT5_ll16rocsparse_order_21rocsparse_index_base_b
	.p2align	8
	.type	_ZN9rocsparseL29bsrmm_general_blockdim_kernelILj32ELj32Eli21rocsparse_complex_numIdES2_S2_S2_EEvb20rocsparse_direction_T2_S4_llNS_24const_host_device_scalarIT6_EEPKT1_PKS4_PKT3_S4_PKT4_llS7_PT5_ll16rocsparse_order_21rocsparse_index_base_b,@function
_ZN9rocsparseL29bsrmm_general_blockdim_kernelILj32ELj32Eli21rocsparse_complex_numIdES2_S2_S2_EEvb20rocsparse_direction_T2_S4_llNS_24const_host_device_scalarIT6_EEPKT1_PKS4_PKT3_S4_PKT4_llS7_PT5_ll16rocsparse_order_21rocsparse_index_base_b: ; @_ZN9rocsparseL29bsrmm_general_blockdim_kernelILj32ELj32Eli21rocsparse_complex_numIdES2_S2_S2_EEvb20rocsparse_direction_T2_S4_llNS_24const_host_device_scalarIT6_EEPKT1_PKS4_PKT3_S4_PKT4_llS7_PT5_ll16rocsparse_order_21rocsparse_index_base_b
; %bb.0:
	s_clause 0x1
	s_load_b128 s[8:11], s[2:3], 0x90
	s_load_b128 s[16:19], s[2:3], 0x20
	s_load_b64 s[6:7], s[0:1], 0x4
	s_mov_b64 s[0:1], src_shared_base
	v_and_b32_e32 v20, 0x3ff, v0
	s_load_b128 s[20:23], s[2:3], 0x68
	v_bfe_u32 v21, v0, 10, 10
	v_bfe_u32 v0, v0, 20, 10
	s_mov_b32 s4, s15
	s_waitcnt lgkmcnt(0)
	s_bitcmp1_b32 s10, 0
	s_cselect_b32 s0, -1, 0
	s_delay_alu instid0(SALU_CYCLE_1)
	s_and_b32 vcc_lo, s0, exec_lo
	s_cselect_b32 s5, s1, s17
	s_lshr_b32 s6, s6, 16
	v_mov_b32_e32 v2, s20
	s_mul_i32 s6, s6, s7
	v_mov_b32_e32 v5, s5
	v_mul_lo_u32 v1, s6, v20
	s_xor_b32 s5, s0, -1
	v_mov_b32_e32 v3, s21
	s_delay_alu instid0(VALU_DEP_2) | instskip(NEXT) | instid1(VALU_DEP_1)
	v_mad_u32_u24 v1, v21, s7, v1
	v_add_lshl_u32 v6, v1, v0, 3
	v_dual_mov_b32 v0, s16 :: v_dual_mov_b32 v1, s17
	s_delay_alu instid0(VALU_DEP_2)
	v_add_nc_u32_e32 v4, 0xa000, v6
	ds_store_2addr_stride64_b64 v6, v[2:3], v[0:1] offset0:64 offset1:80
	v_add_nc_u32_e32 v0, 0x8000, v6
	v_mov_b32_e32 v6, s18
	v_cndmask_b32_e64 v4, s16, v4, s0
	v_mov_b32_e32 v7, s19
	flat_load_b64 v[4:5], v[4:5]
	s_cbranch_vccnz .LBB10_2
; %bb.1:
	v_dual_mov_b32 v1, s16 :: v_dual_mov_b32 v2, s17
	flat_load_b64 v[6:7], v[1:2] offset:8
.LBB10_2:
	s_and_b32 s6, s0, exec_lo
	s_cselect_b32 s1, s1, s21
	v_cndmask_b32_e64 v0, s20, v0, s0
	v_dual_mov_b32 v1, s1 :: v_dual_mov_b32 v10, s22
	v_mov_b32_e32 v11, s23
	s_and_not1_b32 vcc_lo, exec_lo, s5
	flat_load_b64 v[8:9], v[0:1]
	s_cbranch_vccnz .LBB10_4
; %bb.3:
	v_dual_mov_b32 v0, s20 :: v_dual_mov_b32 v1, s21
	flat_load_b64 v[10:11], v[0:1] offset:8
.LBB10_4:
	s_waitcnt vmcnt(1) lgkmcnt(1)
	v_cmp_eq_f64_e32 vcc_lo, 0, v[4:5]
	v_cmp_eq_f64_e64 s0, 0, v[6:7]
	s_delay_alu instid0(VALU_DEP_1)
	s_and_b32 s5, vcc_lo, s0
	s_mov_b32 s0, -1
	s_and_saveexec_b32 s1, s5
	s_cbranch_execz .LBB10_6
; %bb.5:
	s_waitcnt vmcnt(0) lgkmcnt(0)
	v_cmp_neq_f64_e32 vcc_lo, 1.0, v[8:9]
	v_cmp_neq_f64_e64 s0, 0, v[10:11]
	s_delay_alu instid0(VALU_DEP_1) | instskip(NEXT) | instid1(SALU_CYCLE_1)
	s_or_b32 s0, vcc_lo, s0
	s_or_not1_b32 s0, s0, exec_lo
.LBB10_6:
	s_or_b32 exec_lo, exec_lo, s1
	s_and_saveexec_b32 s1, s0
	s_cbranch_execz .LBB10_56
; %bb.7:
	s_clause 0x1
	s_load_b128 s[24:27], s[2:3], 0x0
	s_load_b64 s[0:1], s[2:3], 0x30
	s_mov_b64 s[10:11], 0
	s_mov_b64 s[12:13], 0
	s_waitcnt lgkmcnt(0)
	s_cmp_lt_i32 s14, s26
	s_cselect_b32 s30, -1, 0
	s_cmp_ge_i32 s14, s26
	s_cbranch_scc0 .LBB10_10
; %bb.8:
	s_and_not1_b32 vcc_lo, exec_lo, s30
	s_cbranch_vccz .LBB10_11
.LBB10_9:
	s_load_b32 s26, s[2:3], 0x48
	s_waitcnt lgkmcnt(0)
	s_cmp_lt_i32 s26, 1
	s_cbranch_scc0 .LBB10_12
	s_branch .LBB10_56
.LBB10_10:
	s_ashr_i32 s15, s14, 31
	s_delay_alu instid0(SALU_CYCLE_1) | instskip(NEXT) | instid1(SALU_CYCLE_1)
	s_lshl_b64 s[6:7], s[14:15], 3
	s_add_u32 s6, s0, s6
	s_addc_u32 s7, s1, s7
	s_load_b64 s[6:7], s[6:7], 0x0
	s_waitcnt lgkmcnt(0)
	s_sub_u32 s12, s6, s9
	s_subb_u32 s13, s7, 0
	s_and_not1_b32 vcc_lo, exec_lo, s30
	s_cbranch_vccnz .LBB10_9
.LBB10_11:
	s_ashr_i32 s15, s14, 31
	s_delay_alu instid0(SALU_CYCLE_1) | instskip(NEXT) | instid1(SALU_CYCLE_1)
	s_lshl_b64 s[6:7], s[14:15], 3
	s_add_u32 s0, s0, s6
	s_addc_u32 s1, s1, s7
	s_load_b64 s[0:1], s[0:1], 0x8
	s_waitcnt lgkmcnt(0)
	s_sub_u32 s10, s0, s9
	s_subb_u32 s11, s1, 0
	s_load_b32 s26, s[2:3], 0x48
	s_waitcnt lgkmcnt(0)
	s_cmp_lt_i32 s26, 1
	s_cbranch_scc1 .LBB10_56
.LBB10_12:
	s_load_b128 s[16:19], s[2:3], 0x50
	s_waitcnt vmcnt(0)
	v_cmp_neq_f64_e32 vcc_lo, 0, v[8:9]
	v_cmp_neq_f64_e64 s1, 0, v[10:11]
	s_load_b128 s[20:23], s[2:3], 0x78
	v_lshl_add_u32 v0, s4, 5, v21
	s_load_b128 s[4:7], s[2:3], 0x38
	v_lshlrev_b32_e32 v12, 5, v21
	s_bitcmp1_b32 s24, 0
	v_lshlrev_b32_e32 v32, 4, v20
	v_ashrrev_i32_e32 v1, 31, v0
	s_cselect_b32 s0, -1, 0
	v_add_lshl_u32 v22, v12, v20, 4
	s_xor_b32 s29, s0, -1
	v_cmp_gt_i32_e64 s0, s27, v0
	v_lshlrev_b64 v[12:13], 4, v[0:1]
	s_cmp_lg_u32 s25, 0
	v_add_nc_u32_e32 v23, 0x4000, v22
	s_cselect_b32 s25, -1, 0
	s_and_b32 s27, s30, s0
	v_lshl_add_u32 v33, v21, 9, 0x4000
	s_waitcnt lgkmcnt(0)
	v_mul_lo_u32 v14, v1, s18
	v_mul_lo_u32 v15, v0, s19
	v_mad_u64_u32 v[2:3], null, v0, s18, 0
	v_mul_lo_u32 v16, v1, s22
	v_mul_lo_u32 v17, v0, s23
	v_add_co_u32 v24, s2, s16, v12
	s_delay_alu instid0(VALU_DEP_1) | instskip(SKIP_4) | instid1(VALU_DEP_2)
	v_add_co_ci_u32_e64 v25, s2, s17, v13, s2
	v_add3_u32 v3, v3, v15, v14
	v_mad_u64_u32 v[14:15], null, v0, s22, 0
	s_mul_i32 s24, s14, s26
	s_mov_b32 s28, 0
	v_lshlrev_b64 v[0:1], 4, v[2:3]
	s_delay_alu instid0(VALU_DEP_2) | instskip(SKIP_1) | instid1(VALU_DEP_2)
	v_add3_u32 v15, v15, v17, v16
	s_or_b32 s30, vcc_lo, s1
	v_add_co_u32 v26, vcc_lo, s16, v0
	s_delay_alu instid0(VALU_DEP_3) | instskip(NEXT) | instid1(VALU_DEP_3)
	v_add_co_ci_u32_e32 v27, vcc_lo, s17, v1, vcc_lo
	v_lshlrev_b64 v[0:1], 4, v[14:15]
	v_add_co_u32 v28, vcc_lo, s20, v12
	v_add_co_ci_u32_e32 v29, vcc_lo, s21, v13, vcc_lo
	v_cmp_lt_i64_e64 s16, s[12:13], s[10:11]
	s_delay_alu instid0(VALU_DEP_4)
	v_add_co_u32 v30, vcc_lo, s20, v0
	v_add_co_ci_u32_e32 v31, vcc_lo, s21, v1, vcc_lo
	s_cmp_lg_u32 s8, 1
	s_mul_i32 s8, s26, s26
	s_cselect_b32 s17, -1, 0
	s_branch .LBB10_14
.LBB10_13:                              ;   in Loop: Header=BB10_14 Depth=1
	s_or_b32 exec_lo, exec_lo, s1
	s_add_i32 s28, s28, 32
	s_delay_alu instid0(SALU_CYCLE_1)
	s_cmp_lt_i32 s28, s26
	s_cbranch_scc0 .LBB10_56
.LBB10_14:                              ; =>This Loop Header: Depth=1
                                        ;     Child Loop BB10_17 Depth 2
                                        ;       Child Loop BB10_18 Depth 3
                                        ;         Child Loop BB10_42 Depth 4
	v_mov_b32_e32 v12, 0
	v_dual_mov_b32 v13, 0 :: v_dual_add_nc_u32 v34, s28, v20
	s_and_not1_b32 vcc_lo, exec_lo, s16
	s_delay_alu instid0(VALU_DEP_1) | instskip(NEXT) | instid1(VALU_DEP_2)
	v_cmp_gt_i32_e64 s1, s26, v34
	v_dual_mov_b32 v15, v13 :: v_dual_mov_b32 v14, v12
	s_cbranch_vccnz .LBB10_45
; %bb.15:                               ;   in Loop: Header=BB10_14 Depth=1
	v_mov_b32_e32 v12, 0
	v_mov_b32_e32 v13, 0
	v_mul_lo_u32 v35, v34, s26
	s_mov_b64 s[2:3], s[12:13]
	s_delay_alu instid0(VALU_DEP_2)
	v_dual_mov_b32 v15, v13 :: v_dual_mov_b32 v14, v12
	s_branch .LBB10_17
.LBB10_16:                              ;   in Loop: Header=BB10_17 Depth=2
	s_add_u32 s2, s2, 1
	s_addc_u32 s3, s3, 0
	s_delay_alu instid0(SALU_CYCLE_1) | instskip(NEXT) | instid1(VALU_DEP_1)
	v_cmp_ge_i64_e64 s14, s[2:3], s[10:11]
	s_and_b32 vcc_lo, exec_lo, s14
	s_cbranch_vccnz .LBB10_45
.LBB10_17:                              ;   Parent Loop BB10_14 Depth=1
                                        ; =>  This Loop Header: Depth=2
                                        ;       Child Loop BB10_18 Depth 3
                                        ;         Child Loop BB10_42 Depth 4
	s_lshl_b64 s[14:15], s[2:3], 2
	s_mul_hi_u32 s21, s2, s8
	s_add_u32 s14, s4, s14
	s_addc_u32 s15, s5, s15
	s_mov_b32 s33, 0
	s_load_b32 s20, s[14:15], 0x0
	s_mul_i32 s15, s3, s8
	s_mul_i32 s14, s2, s8
	s_add_i32 s15, s21, s15
	s_delay_alu instid0(SALU_CYCLE_1)
	s_lshl_b64 s[14:15], s[14:15], 4
	s_waitcnt lgkmcnt(0)
	s_sub_i32 s21, s20, s9
	s_add_u32 s20, s6, s14
	s_mul_i32 s21, s21, s26
	s_addc_u32 s31, s7, s15
.LBB10_18:                              ;   Parent Loop BB10_14 Depth=1
                                        ;     Parent Loop BB10_17 Depth=2
                                        ; =>    This Loop Header: Depth=3
                                        ;         Child Loop BB10_42 Depth 4
	s_and_b32 vcc_lo, exec_lo, s29
	s_cbranch_vccz .LBB10_24
; %bb.19:                               ;   in Loop: Header=BB10_18 Depth=3
	s_mov_b32 s35, 0
	s_mov_b32 s34, 0
                                        ; implicit-def: $vgpr16_vgpr17
	s_and_saveexec_b32 s14, s0
	s_cbranch_execz .LBB10_23
; %bb.20:                               ;   in Loop: Header=BB10_18 Depth=3
	v_add_nc_u32_e32 v0, s33, v20
	s_mov_b32 s15, 0
	s_mov_b32 s34, exec_lo
                                        ; implicit-def: $vgpr16_vgpr17
	s_delay_alu instid0(VALU_DEP_1)
	v_cmpx_gt_i32_e64 s26, v0
	s_xor_b32 s34, exec_lo, s34
; %bb.21:                               ;   in Loop: Header=BB10_18 Depth=3
	v_add_nc_u32_e32 v2, s21, v0
	s_mov_b32 s15, exec_lo
	s_delay_alu instid0(VALU_DEP_1) | instskip(SKIP_2) | instid1(VALU_DEP_3)
	v_ashrrev_i32_e32 v3, 31, v2
	v_mul_lo_u32 v16, v2, s19
	v_mad_u64_u32 v[0:1], null, v2, s18, 0
	v_mul_lo_u32 v2, v3, s18
	s_delay_alu instid0(VALU_DEP_1) | instskip(NEXT) | instid1(VALU_DEP_1)
	v_add3_u32 v1, v1, v16, v2
	v_lshlrev_b64 v[0:1], 4, v[0:1]
	s_delay_alu instid0(VALU_DEP_1) | instskip(NEXT) | instid1(VALU_DEP_2)
	v_add_co_u32 v16, vcc_lo, v24, v0
	v_add_co_ci_u32_e32 v17, vcc_lo, v25, v1, vcc_lo
; %bb.22:                               ;   in Loop: Header=BB10_18 Depth=3
	s_or_b32 exec_lo, exec_lo, s34
	s_delay_alu instid0(SALU_CYCLE_1)
	s_and_b32 s34, s15, exec_lo
.LBB10_23:                              ;   in Loop: Header=BB10_18 Depth=3
	s_or_b32 exec_lo, exec_lo, s14
	s_mov_b64 s[14:15], 0
	s_and_b32 vcc_lo, exec_lo, s35
	s_cbranch_vccnz .LBB10_25
	s_branch .LBB10_30
.LBB10_24:                              ;   in Loop: Header=BB10_18 Depth=3
	s_mov_b32 s34, 0
                                        ; implicit-def: $vgpr16_vgpr17
                                        ; implicit-def: $sgpr14_sgpr15
	s_cbranch_execz .LBB10_30
.LBB10_25:                              ;   in Loop: Header=BB10_18 Depth=3
                                        ; implicit-def: $vgpr16_vgpr17
	s_and_saveexec_b32 s14, s0
	s_cbranch_execz .LBB10_29
; %bb.26:                               ;   in Loop: Header=BB10_18 Depth=3
	v_add_nc_u32_e32 v0, s33, v20
	s_mov_b32 s35, s34
	s_mov_b32 s15, exec_lo
                                        ; implicit-def: $vgpr16_vgpr17
	s_delay_alu instid0(VALU_DEP_1)
	v_cmpx_gt_i32_e64 s26, v0
; %bb.27:                               ;   in Loop: Header=BB10_18 Depth=3
	v_add_nc_u32_e32 v0, s21, v0
	s_or_b32 s35, s34, exec_lo
	s_delay_alu instid0(VALU_DEP_1) | instskip(NEXT) | instid1(VALU_DEP_1)
	v_ashrrev_i32_e32 v1, 31, v0
	v_lshlrev_b64 v[0:1], 4, v[0:1]
	s_delay_alu instid0(VALU_DEP_1) | instskip(NEXT) | instid1(VALU_DEP_2)
	v_add_co_u32 v16, vcc_lo, v26, v0
	v_add_co_ci_u32_e32 v17, vcc_lo, v27, v1, vcc_lo
; %bb.28:                               ;   in Loop: Header=BB10_18 Depth=3
	s_or_b32 exec_lo, exec_lo, s15
	s_delay_alu instid0(SALU_CYCLE_1) | instskip(SKIP_1) | instid1(SALU_CYCLE_1)
	s_and_not1_b32 s15, s34, exec_lo
	s_and_b32 s34, s35, exec_lo
	s_or_b32 s34, s15, s34
.LBB10_29:                              ;   in Loop: Header=BB10_18 Depth=3
	s_or_b32 exec_lo, exec_lo, s14
	s_mov_b64 s[14:15], 0
.LBB10_30:                              ;   in Loop: Header=BB10_18 Depth=3
	s_delay_alu instid0(SALU_CYCLE_1)
	v_dual_mov_b32 v0, s14 :: v_dual_mov_b32 v1, s15
	v_dual_mov_b32 v2, s14 :: v_dual_mov_b32 v3, s15
	s_and_saveexec_b32 s14, s34
	s_cbranch_execz .LBB10_32
; %bb.31:                               ;   in Loop: Header=BB10_18 Depth=3
	global_load_b128 v[0:3], v[16:17], off
.LBB10_32:                              ;   in Loop: Header=BB10_18 Depth=3
	s_or_b32 exec_lo, exec_lo, s14
	s_delay_alu instid0(SALU_CYCLE_1)
	s_and_b32 vcc_lo, exec_lo, s25
	s_waitcnt vmcnt(0)
	ds_store_b128 v23, v[0:3]
	s_cbranch_vccz .LBB10_44
; %bb.33:                               ;   in Loop: Header=BB10_18 Depth=3
	s_mov_b32 s35, 0
	s_mov_b32 s34, 0
                                        ; implicit-def: $vgpr16
	s_and_saveexec_b32 s14, s1
	s_cbranch_execz .LBB10_37
; %bb.34:                               ;   in Loop: Header=BB10_18 Depth=3
	v_add_nc_u32_e32 v0, s33, v21
	s_mov_b32 s15, 0
	s_mov_b32 s34, exec_lo
                                        ; implicit-def: $vgpr16
	s_delay_alu instid0(VALU_DEP_1)
	v_cmpx_gt_i32_e64 s26, v0
	s_xor_b32 s34, exec_lo, s34
; %bb.35:                               ;   in Loop: Header=BB10_18 Depth=3
	s_mov_b32 s15, exec_lo
	v_mul_lo_u32 v16, v0, s26
; %bb.36:                               ;   in Loop: Header=BB10_18 Depth=3
	s_or_b32 exec_lo, exec_lo, s34
	s_delay_alu instid0(SALU_CYCLE_1)
	s_and_b32 s34, s15, exec_lo
.LBB10_37:                              ;   in Loop: Header=BB10_18 Depth=3
	s_or_b32 exec_lo, exec_lo, s14
	v_mov_b32_e32 v18, v34
	s_mov_b64 s[14:15], 0
	s_and_b32 vcc_lo, exec_lo, s35
	s_cbranch_vccz .LBB10_39
.LBB10_38:                              ;   in Loop: Header=BB10_18 Depth=3
	v_add_nc_u32_e32 v16, s33, v21
	v_mov_b32_e32 v18, v35
	s_and_not1_b32 s34, s34, exec_lo
	s_delay_alu instid0(VALU_DEP_2) | instskip(SKIP_1) | instid1(SALU_CYCLE_1)
	v_cmp_gt_i32_e32 vcc_lo, s26, v16
	s_and_b32 s14, s1, vcc_lo
	s_and_b32 s35, s14, exec_lo
	s_mov_b64 s[14:15], 0
	s_or_b32 s34, s34, s35
.LBB10_39:                              ;   in Loop: Header=BB10_18 Depth=3
	v_dual_mov_b32 v0, s14 :: v_dual_mov_b32 v1, s15
	v_dual_mov_b32 v2, s14 :: v_dual_mov_b32 v3, s15
	s_and_saveexec_b32 s14, s34
	s_cbranch_execz .LBB10_41
; %bb.40:                               ;   in Loop: Header=BB10_18 Depth=3
	v_ashrrev_i32_e32 v19, 31, v18
	v_ashrrev_i32_e32 v17, 31, v16
	s_delay_alu instid0(VALU_DEP_2) | instskip(NEXT) | instid1(VALU_DEP_2)
	v_lshlrev_b64 v[0:1], 4, v[18:19]
	v_lshlrev_b64 v[2:3], 4, v[16:17]
	s_delay_alu instid0(VALU_DEP_2) | instskip(NEXT) | instid1(VALU_DEP_3)
	v_add_co_u32 v0, vcc_lo, s20, v0
	v_add_co_ci_u32_e32 v1, vcc_lo, s31, v1, vcc_lo
	s_delay_alu instid0(VALU_DEP_2) | instskip(NEXT) | instid1(VALU_DEP_2)
	v_add_co_u32 v0, vcc_lo, v0, v2
	v_add_co_ci_u32_e32 v1, vcc_lo, v1, v3, vcc_lo
	global_load_b128 v[0:3], v[0:1], off
.LBB10_41:                              ;   in Loop: Header=BB10_18 Depth=3
	s_or_b32 exec_lo, exec_lo, s14
	s_waitcnt vmcnt(0)
	ds_store_b128 v22, v[0:3]
	v_mov_b32_e32 v0, v32
	s_mov_b32 s14, 0
	s_waitcnt lgkmcnt(0)
	s_waitcnt_vscnt null, 0x0
	s_barrier
	buffer_gl0_inv
.LBB10_42:                              ;   Parent Loop BB10_14 Depth=1
                                        ;     Parent Loop BB10_17 Depth=2
                                        ;       Parent Loop BB10_18 Depth=3
                                        ; =>      This Inner Loop Header: Depth=4
	v_add_nc_u32_e32 v3, s14, v33
	s_add_i32 s14, s14, 64
	ds_load_b128 v[16:19], v0
	ds_load_b128 v[36:39], v3
	ds_load_b128 v[40:43], v0 offset:512
	ds_load_b128 v[44:47], v3 offset:16
	s_cmpk_eq_i32 s14, 0x200
	s_waitcnt lgkmcnt(2)
	v_fma_f64 v[1:2], v[16:17], v[36:37], v[14:15]
	v_fma_f64 v[12:13], v[18:19], v[36:37], v[12:13]
	s_delay_alu instid0(VALU_DEP_2) | instskip(NEXT) | instid1(VALU_DEP_2)
	v_fma_f64 v[1:2], -v[18:19], v[38:39], v[1:2]
	v_fma_f64 v[12:13], v[16:17], v[38:39], v[12:13]
	s_waitcnt lgkmcnt(0)
	s_delay_alu instid0(VALU_DEP_2) | instskip(NEXT) | instid1(VALU_DEP_2)
	v_fma_f64 v[1:2], v[40:41], v[44:45], v[1:2]
	v_fma_f64 v[12:13], v[42:43], v[44:45], v[12:13]
	s_delay_alu instid0(VALU_DEP_2) | instskip(NEXT) | instid1(VALU_DEP_2)
	v_fma_f64 v[1:2], -v[42:43], v[46:47], v[1:2]
	v_fma_f64 v[44:45], v[40:41], v[46:47], v[12:13]
	ds_load_b128 v[12:15], v0 offset:1024
	ds_load_b128 v[16:19], v3 offset:32
	;; [unrolled: 1-line block ×4, first 2 shown]
	v_add_nc_u32_e32 v0, 0x800, v0
	s_waitcnt lgkmcnt(2)
	v_fma_f64 v[1:2], v[12:13], v[16:17], v[1:2]
	v_fma_f64 v[16:17], v[14:15], v[16:17], v[44:45]
	s_delay_alu instid0(VALU_DEP_2) | instskip(NEXT) | instid1(VALU_DEP_2)
	v_fma_f64 v[1:2], -v[14:15], v[18:19], v[1:2]
	v_fma_f64 v[12:13], v[12:13], v[18:19], v[16:17]
	s_waitcnt lgkmcnt(0)
	s_delay_alu instid0(VALU_DEP_2) | instskip(NEXT) | instid1(VALU_DEP_2)
	v_fma_f64 v[1:2], v[36:37], v[40:41], v[1:2]
	v_fma_f64 v[12:13], v[38:39], v[40:41], v[12:13]
	s_delay_alu instid0(VALU_DEP_2) | instskip(NEXT) | instid1(VALU_DEP_2)
	v_fma_f64 v[14:15], -v[38:39], v[42:43], v[1:2]
	v_fma_f64 v[12:13], v[36:37], v[42:43], v[12:13]
	s_cbranch_scc0 .LBB10_42
; %bb.43:                               ;   in Loop: Header=BB10_18 Depth=3
	s_add_i32 s33, s33, 32
	s_delay_alu instid0(SALU_CYCLE_1)
	s_cmp_ge_i32 s33, s26
	s_barrier
	buffer_gl0_inv
	s_cbranch_scc0 .LBB10_18
	s_branch .LBB10_16
.LBB10_44:                              ;   in Loop: Header=BB10_18 Depth=3
	s_mov_b32 s34, 0
                                        ; implicit-def: $vgpr18
                                        ; implicit-def: $vgpr16
                                        ; implicit-def: $sgpr14_sgpr15
	s_cbranch_execnz .LBB10_38
	s_branch .LBB10_39
.LBB10_45:                              ;   in Loop: Header=BB10_14 Depth=1
	v_cmp_gt_i32_e32 vcc_lo, s26, v34
	s_and_b32 s2, s27, vcc_lo
	s_delay_alu instid0(SALU_CYCLE_1)
	s_and_saveexec_b32 s1, s2
	s_cbranch_execz .LBB10_13
; %bb.46:                               ;   in Loop: Header=BB10_14 Depth=1
	v_add_nc_u32_e32 v16, s24, v34
	s_delay_alu instid0(VALU_DEP_1) | instskip(SKIP_1) | instid1(SALU_CYCLE_1)
	v_ashrrev_i32_e32 v17, 31, v16
	s_and_saveexec_b32 s2, s30
	s_xor_b32 s2, exec_lo, s2
	s_cbranch_execz .LBB10_51
; %bb.47:                               ;   in Loop: Header=BB10_14 Depth=1
	s_and_b32 vcc_lo, exec_lo, s17
	s_mov_b32 s3, -1
	s_cbranch_vccz .LBB10_49
; %bb.48:                               ;   in Loop: Header=BB10_14 Depth=1
	v_mul_lo_u32 v2, v17, s22
	v_mul_lo_u32 v3, v16, s23
	v_mad_u64_u32 v[0:1], null, v16, s22, 0
	v_mul_f64 v[34:35], v[12:13], -v[6:7]
	v_mul_f64 v[36:37], v[4:5], v[12:13]
	s_mov_b32 s3, 0
	s_delay_alu instid0(VALU_DEP_3) | instskip(NEXT) | instid1(VALU_DEP_1)
	v_add3_u32 v1, v1, v3, v2
	v_lshlrev_b64 v[0:1], 4, v[0:1]
	s_delay_alu instid0(VALU_DEP_1) | instskip(NEXT) | instid1(VALU_DEP_2)
	v_add_co_u32 v18, vcc_lo, v28, v0
	v_add_co_ci_u32_e32 v19, vcc_lo, v29, v1, vcc_lo
	global_load_b128 v[0:3], v[18:19], off
	v_fma_f64 v[34:35], v[4:5], v[14:15], v[34:35]
	v_fma_f64 v[36:37], v[6:7], v[14:15], v[36:37]
	s_waitcnt vmcnt(0)
	s_delay_alu instid0(VALU_DEP_2) | instskip(NEXT) | instid1(VALU_DEP_2)
	v_fma_f64 v[34:35], v[8:9], v[0:1], v[34:35]
	v_fma_f64 v[36:37], v[10:11], v[0:1], v[36:37]
	s_delay_alu instid0(VALU_DEP_2) | instskip(NEXT) | instid1(VALU_DEP_2)
	v_fma_f64 v[0:1], -v[10:11], v[2:3], v[34:35]
	v_fma_f64 v[2:3], v[8:9], v[2:3], v[36:37]
	global_store_b128 v[18:19], v[0:3], off
.LBB10_49:                              ;   in Loop: Header=BB10_14 Depth=1
	s_and_not1_b32 vcc_lo, exec_lo, s3
	s_cbranch_vccnz .LBB10_51
; %bb.50:                               ;   in Loop: Header=BB10_14 Depth=1
	v_lshlrev_b64 v[0:1], 4, v[16:17]
	v_mul_f64 v[18:19], v[12:13], -v[6:7]
	v_mul_f64 v[12:13], v[4:5], v[12:13]
	s_delay_alu instid0(VALU_DEP_3) | instskip(NEXT) | instid1(VALU_DEP_4)
	v_add_co_u32 v16, vcc_lo, v30, v0
	v_add_co_ci_u32_e32 v17, vcc_lo, v31, v1, vcc_lo
	global_load_b128 v[0:3], v[16:17], off
	v_fma_f64 v[18:19], v[4:5], v[14:15], v[18:19]
	v_fma_f64 v[12:13], v[6:7], v[14:15], v[12:13]
	s_waitcnt vmcnt(0)
	s_delay_alu instid0(VALU_DEP_2) | instskip(NEXT) | instid1(VALU_DEP_2)
	v_fma_f64 v[14:15], v[8:9], v[0:1], v[18:19]
	v_fma_f64 v[12:13], v[10:11], v[0:1], v[12:13]
	s_delay_alu instid0(VALU_DEP_2) | instskip(NEXT) | instid1(VALU_DEP_2)
	v_fma_f64 v[0:1], -v[10:11], v[2:3], v[14:15]
	v_fma_f64 v[2:3], v[8:9], v[2:3], v[12:13]
                                        ; implicit-def: $vgpr12_vgpr13
                                        ; implicit-def: $vgpr14_vgpr15
	global_store_b128 v[16:17], v[0:3], off
                                        ; implicit-def: $vgpr16
.LBB10_51:                              ;   in Loop: Header=BB10_14 Depth=1
	s_and_not1_saveexec_b32 s2, s2
	s_cbranch_execz .LBB10_13
; %bb.52:                               ;   in Loop: Header=BB10_14 Depth=1
	v_mul_f64 v[0:1], v[12:13], -v[6:7]
	v_mul_f64 v[2:3], v[4:5], v[12:13]
	s_and_b32 vcc_lo, exec_lo, s17
	s_mov_b32 s2, -1
	s_delay_alu instid0(VALU_DEP_2) | instskip(NEXT) | instid1(VALU_DEP_2)
	v_fma_f64 v[0:1], v[4:5], v[14:15], v[0:1]
	v_fma_f64 v[2:3], v[6:7], v[14:15], v[2:3]
	s_cbranch_vccz .LBB10_54
; %bb.53:                               ;   in Loop: Header=BB10_14 Depth=1
	v_mul_lo_u32 v14, v17, s22
	v_mul_lo_u32 v15, v16, s23
	v_mad_u64_u32 v[12:13], null, v16, s22, 0
	s_mov_b32 s2, 0
	s_delay_alu instid0(VALU_DEP_1) | instskip(NEXT) | instid1(VALU_DEP_1)
	v_add3_u32 v13, v13, v15, v14
	v_lshlrev_b64 v[12:13], 4, v[12:13]
	s_delay_alu instid0(VALU_DEP_1) | instskip(NEXT) | instid1(VALU_DEP_2)
	v_add_co_u32 v12, vcc_lo, v28, v12
	v_add_co_ci_u32_e32 v13, vcc_lo, v29, v13, vcc_lo
	global_store_b128 v[12:13], v[0:3], off
.LBB10_54:                              ;   in Loop: Header=BB10_14 Depth=1
	s_and_not1_b32 vcc_lo, exec_lo, s2
	s_cbranch_vccnz .LBB10_13
; %bb.55:                               ;   in Loop: Header=BB10_14 Depth=1
	v_lshlrev_b64 v[12:13], 4, v[16:17]
	s_delay_alu instid0(VALU_DEP_1) | instskip(NEXT) | instid1(VALU_DEP_2)
	v_add_co_u32 v12, vcc_lo, v30, v12
	v_add_co_ci_u32_e32 v13, vcc_lo, v31, v13, vcc_lo
	global_store_b128 v[12:13], v[0:3], off
	s_branch .LBB10_13
.LBB10_56:
	s_nop 0
	s_sendmsg sendmsg(MSG_DEALLOC_VGPRS)
	s_endpgm
	.section	.rodata,"a",@progbits
	.p2align	6, 0x0
	.amdhsa_kernel _ZN9rocsparseL29bsrmm_general_blockdim_kernelILj32ELj32Eli21rocsparse_complex_numIdES2_S2_S2_EEvb20rocsparse_direction_T2_S4_llNS_24const_host_device_scalarIT6_EEPKT1_PKS4_PKT3_S4_PKT4_llS7_PT5_ll16rocsparse_order_21rocsparse_index_base_b
		.amdhsa_group_segment_fixed_size 49152
		.amdhsa_private_segment_fixed_size 0
		.amdhsa_kernarg_size 156
		.amdhsa_user_sgpr_count 14
		.amdhsa_user_sgpr_dispatch_ptr 1
		.amdhsa_user_sgpr_queue_ptr 0
		.amdhsa_user_sgpr_kernarg_segment_ptr 1
		.amdhsa_user_sgpr_dispatch_id 0
		.amdhsa_user_sgpr_private_segment_size 0
		.amdhsa_wavefront_size32 1
		.amdhsa_uses_dynamic_stack 0
		.amdhsa_enable_private_segment 0
		.amdhsa_system_sgpr_workgroup_id_x 1
		.amdhsa_system_sgpr_workgroup_id_y 1
		.amdhsa_system_sgpr_workgroup_id_z 0
		.amdhsa_system_sgpr_workgroup_info 0
		.amdhsa_system_vgpr_workitem_id 2
		.amdhsa_next_free_vgpr 48
		.amdhsa_next_free_sgpr 36
		.amdhsa_reserve_vcc 1
		.amdhsa_float_round_mode_32 0
		.amdhsa_float_round_mode_16_64 0
		.amdhsa_float_denorm_mode_32 3
		.amdhsa_float_denorm_mode_16_64 3
		.amdhsa_dx10_clamp 1
		.amdhsa_ieee_mode 1
		.amdhsa_fp16_overflow 0
		.amdhsa_workgroup_processor_mode 1
		.amdhsa_memory_ordered 1
		.amdhsa_forward_progress 0
		.amdhsa_shared_vgpr_count 0
		.amdhsa_exception_fp_ieee_invalid_op 0
		.amdhsa_exception_fp_denorm_src 0
		.amdhsa_exception_fp_ieee_div_zero 0
		.amdhsa_exception_fp_ieee_overflow 0
		.amdhsa_exception_fp_ieee_underflow 0
		.amdhsa_exception_fp_ieee_inexact 0
		.amdhsa_exception_int_div_zero 0
	.end_amdhsa_kernel
	.section	.text._ZN9rocsparseL29bsrmm_general_blockdim_kernelILj32ELj32Eli21rocsparse_complex_numIdES2_S2_S2_EEvb20rocsparse_direction_T2_S4_llNS_24const_host_device_scalarIT6_EEPKT1_PKS4_PKT3_S4_PKT4_llS7_PT5_ll16rocsparse_order_21rocsparse_index_base_b,"axG",@progbits,_ZN9rocsparseL29bsrmm_general_blockdim_kernelILj32ELj32Eli21rocsparse_complex_numIdES2_S2_S2_EEvb20rocsparse_direction_T2_S4_llNS_24const_host_device_scalarIT6_EEPKT1_PKS4_PKT3_S4_PKT4_llS7_PT5_ll16rocsparse_order_21rocsparse_index_base_b,comdat
.Lfunc_end10:
	.size	_ZN9rocsparseL29bsrmm_general_blockdim_kernelILj32ELj32Eli21rocsparse_complex_numIdES2_S2_S2_EEvb20rocsparse_direction_T2_S4_llNS_24const_host_device_scalarIT6_EEPKT1_PKS4_PKT3_S4_PKT4_llS7_PT5_ll16rocsparse_order_21rocsparse_index_base_b, .Lfunc_end10-_ZN9rocsparseL29bsrmm_general_blockdim_kernelILj32ELj32Eli21rocsparse_complex_numIdES2_S2_S2_EEvb20rocsparse_direction_T2_S4_llNS_24const_host_device_scalarIT6_EEPKT1_PKS4_PKT3_S4_PKT4_llS7_PT5_ll16rocsparse_order_21rocsparse_index_base_b
                                        ; -- End function
	.section	.AMDGPU.csdata,"",@progbits
; Kernel info:
; codeLenInByte = 2468
; NumSgprs: 38
; NumVgprs: 48
; ScratchSize: 0
; MemoryBound: 1
; FloatMode: 240
; IeeeMode: 1
; LDSByteSize: 49152 bytes/workgroup (compile time only)
; SGPRBlocks: 4
; VGPRBlocks: 5
; NumSGPRsForWavesPerEU: 38
; NumVGPRsForWavesPerEU: 48
; Occupancy: 16
; WaveLimiterHint : 1
; COMPUTE_PGM_RSRC2:SCRATCH_EN: 0
; COMPUTE_PGM_RSRC2:USER_SGPR: 14
; COMPUTE_PGM_RSRC2:TRAP_HANDLER: 0
; COMPUTE_PGM_RSRC2:TGID_X_EN: 1
; COMPUTE_PGM_RSRC2:TGID_Y_EN: 1
; COMPUTE_PGM_RSRC2:TGID_Z_EN: 0
; COMPUTE_PGM_RSRC2:TIDIG_COMP_CNT: 2
	.section	.text._ZN9rocsparseL29bsrmm_general_blockdim_kernelILj32ELj32Ell21rocsparse_complex_numIdES2_S2_S2_EEvb20rocsparse_direction_T2_S4_llNS_24const_host_device_scalarIT6_EEPKT1_PKS4_PKT3_S4_PKT4_llS7_PT5_ll16rocsparse_order_21rocsparse_index_base_b,"axG",@progbits,_ZN9rocsparseL29bsrmm_general_blockdim_kernelILj32ELj32Ell21rocsparse_complex_numIdES2_S2_S2_EEvb20rocsparse_direction_T2_S4_llNS_24const_host_device_scalarIT6_EEPKT1_PKS4_PKT3_S4_PKT4_llS7_PT5_ll16rocsparse_order_21rocsparse_index_base_b,comdat
	.globl	_ZN9rocsparseL29bsrmm_general_blockdim_kernelILj32ELj32Ell21rocsparse_complex_numIdES2_S2_S2_EEvb20rocsparse_direction_T2_S4_llNS_24const_host_device_scalarIT6_EEPKT1_PKS4_PKT3_S4_PKT4_llS7_PT5_ll16rocsparse_order_21rocsparse_index_base_b ; -- Begin function _ZN9rocsparseL29bsrmm_general_blockdim_kernelILj32ELj32Ell21rocsparse_complex_numIdES2_S2_S2_EEvb20rocsparse_direction_T2_S4_llNS_24const_host_device_scalarIT6_EEPKT1_PKS4_PKT3_S4_PKT4_llS7_PT5_ll16rocsparse_order_21rocsparse_index_base_b
	.p2align	8
	.type	_ZN9rocsparseL29bsrmm_general_blockdim_kernelILj32ELj32Ell21rocsparse_complex_numIdES2_S2_S2_EEvb20rocsparse_direction_T2_S4_llNS_24const_host_device_scalarIT6_EEPKT1_PKS4_PKT3_S4_PKT4_llS7_PT5_ll16rocsparse_order_21rocsparse_index_base_b,@function
_ZN9rocsparseL29bsrmm_general_blockdim_kernelILj32ELj32Ell21rocsparse_complex_numIdES2_S2_S2_EEvb20rocsparse_direction_T2_S4_llNS_24const_host_device_scalarIT6_EEPKT1_PKS4_PKT3_S4_PKT4_llS7_PT5_ll16rocsparse_order_21rocsparse_index_base_b: ; @_ZN9rocsparseL29bsrmm_general_blockdim_kernelILj32ELj32Ell21rocsparse_complex_numIdES2_S2_S2_EEvb20rocsparse_direction_T2_S4_llNS_24const_host_device_scalarIT6_EEPKT1_PKS4_PKT3_S4_PKT4_llS7_PT5_ll16rocsparse_order_21rocsparse_index_base_b
; %bb.0:
	s_clause 0x1
	s_load_b128 s[20:23], s[2:3], 0x98
	s_load_b128 s[8:11], s[2:3], 0x28
	s_load_b64 s[6:7], s[0:1], 0x4
	s_mov_b64 s[0:1], src_shared_base
	v_and_b32_e32 v20, 0x3ff, v0
	s_load_b128 s[16:19], s[2:3], 0x70
	v_bfe_u32 v21, v0, 10, 10
	v_bfe_u32 v0, v0, 20, 10
	s_mov_b32 s4, s15
	s_waitcnt lgkmcnt(0)
	s_bitcmp1_b32 s22, 0
	s_cselect_b32 s0, -1, 0
	s_delay_alu instid0(SALU_CYCLE_1)
	s_and_b32 vcc_lo, s0, exec_lo
	s_cselect_b32 s5, s1, s9
	s_lshr_b32 s6, s6, 16
	v_mov_b32_e32 v2, s16
	s_mul_i32 s6, s6, s7
	v_mov_b32_e32 v5, s5
	v_mul_lo_u32 v1, s6, v20
	s_xor_b32 s5, s0, -1
	v_mov_b32_e32 v3, s17
	s_delay_alu instid0(VALU_DEP_2) | instskip(NEXT) | instid1(VALU_DEP_1)
	v_mad_u32_u24 v1, v21, s7, v1
	v_add_lshl_u32 v6, v1, v0, 3
	v_dual_mov_b32 v0, s8 :: v_dual_mov_b32 v1, s9
	s_delay_alu instid0(VALU_DEP_2)
	v_add_nc_u32_e32 v4, 0xa000, v6
	ds_store_2addr_stride64_b64 v6, v[2:3], v[0:1] offset0:64 offset1:80
	v_add_nc_u32_e32 v0, 0x8000, v6
	v_mov_b32_e32 v6, s10
	v_cndmask_b32_e64 v4, s8, v4, s0
	v_mov_b32_e32 v7, s11
	flat_load_b64 v[4:5], v[4:5]
	s_cbranch_vccnz .LBB11_2
; %bb.1:
	v_dual_mov_b32 v1, s8 :: v_dual_mov_b32 v2, s9
	flat_load_b64 v[6:7], v[1:2] offset:8
.LBB11_2:
	s_and_b32 s6, s0, exec_lo
	s_cselect_b32 s1, s1, s17
	v_cndmask_b32_e64 v0, s16, v0, s0
	v_dual_mov_b32 v1, s1 :: v_dual_mov_b32 v10, s18
	v_mov_b32_e32 v11, s19
	s_and_not1_b32 vcc_lo, exec_lo, s5
	flat_load_b64 v[8:9], v[0:1]
	s_cbranch_vccnz .LBB11_4
; %bb.3:
	v_dual_mov_b32 v0, s16 :: v_dual_mov_b32 v1, s17
	flat_load_b64 v[10:11], v[0:1] offset:8
.LBB11_4:
	s_waitcnt vmcnt(1) lgkmcnt(1)
	v_cmp_eq_f64_e32 vcc_lo, 0, v[4:5]
	v_cmp_eq_f64_e64 s0, 0, v[6:7]
	s_delay_alu instid0(VALU_DEP_1)
	s_and_b32 s5, vcc_lo, s0
	s_mov_b32 s0, -1
	s_and_saveexec_b32 s1, s5
	s_cbranch_execz .LBB11_6
; %bb.5:
	s_waitcnt vmcnt(0) lgkmcnt(0)
	v_cmp_neq_f64_e32 vcc_lo, 1.0, v[8:9]
	v_cmp_neq_f64_e64 s0, 0, v[10:11]
	s_delay_alu instid0(VALU_DEP_1) | instskip(NEXT) | instid1(SALU_CYCLE_1)
	s_or_b32 s0, vcc_lo, s0
	s_or_not1_b32 s0, s0, exec_lo
.LBB11_6:
	s_or_b32 exec_lo, exec_lo, s1
	s_and_saveexec_b32 s1, s0
	s_cbranch_execz .LBB11_60
; %bb.7:
	s_clause 0x1
	s_load_b128 s[24:27], s[2:3], 0x8
	s_load_b64 s[0:1], s[2:3], 0x38
	s_ashr_i32 s15, s14, 31
	s_mov_b64 s[12:13], 0
	s_mov_b64 s[22:23], 0
	s_waitcnt lgkmcnt(0)
	v_cmp_ge_i64_e64 s5, s[14:15], s[24:25]
	v_cmp_lt_i64_e64 s34, s[14:15], s[24:25]
	s_delay_alu instid0(VALU_DEP_2)
	s_and_b32 vcc_lo, exec_lo, s5
	s_cbranch_vccz .LBB11_10
; %bb.8:
	s_delay_alu instid0(VALU_DEP_1)
	s_and_not1_b32 vcc_lo, exec_lo, s34
	s_cbranch_vccz .LBB11_11
.LBB11_9:
	s_load_b64 s[24:25], s[2:3], 0x50
	s_waitcnt lgkmcnt(0)
	v_cmp_lt_i64_e64 s0, s[24:25], 1
	s_delay_alu instid0(VALU_DEP_1)
	s_and_b32 vcc_lo, exec_lo, s0
	s_cbranch_vccz .LBB11_12
	s_branch .LBB11_60
.LBB11_10:
	s_lshl_b64 s[6:7], s[14:15], 3
	s_delay_alu instid0(SALU_CYCLE_1)
	s_add_u32 s6, s0, s6
	s_addc_u32 s7, s1, s7
	s_load_b64 s[6:7], s[6:7], 0x0
	s_waitcnt lgkmcnt(0)
	s_sub_u32 s22, s6, s21
	s_subb_u32 s23, s7, 0
	s_and_not1_b32 vcc_lo, exec_lo, s34
	s_cbranch_vccnz .LBB11_9
.LBB11_11:
	s_lshl_b64 s[6:7], s[14:15], 3
	s_delay_alu instid0(SALU_CYCLE_1)
	s_add_u32 s0, s0, s6
	s_addc_u32 s1, s1, s7
	s_load_b64 s[0:1], s[0:1], 0x8
	s_waitcnt lgkmcnt(0)
	s_sub_u32 s12, s0, s21
	s_subb_u32 s13, s1, 0
	s_load_b64 s[24:25], s[2:3], 0x50
	s_waitcnt lgkmcnt(0)
	v_cmp_lt_i64_e64 s0, s[24:25], 1
	s_delay_alu instid0(VALU_DEP_1)
	s_and_b32 vcc_lo, exec_lo, s0
	s_cbranch_vccnz .LBB11_60
.LBB11_12:
	s_clause 0x1
	s_load_b128 s[8:11], s[2:3], 0x58
	s_load_b128 s[16:19], s[2:3], 0x80
	v_lshl_add_u32 v0, s4, 5, v21
	s_waitcnt vmcnt(0)
	v_cmp_neq_f64_e32 vcc_lo, 0, v[8:9]
	v_cmp_neq_f64_e64 s1, 0, v[10:11]
	v_dual_mov_b32 v1, 0 :: v_dual_lshlrev_b32 v12, 5, v21
	s_clause 0x1
	s_load_b128 s[4:7], s[2:3], 0x40
	s_load_b64 s[36:37], s[2:3], 0x0
	s_mul_i32 s3, s14, s25
	s_mul_hi_u32 s15, s14, s24
	v_cmp_gt_i64_e64 s0, s[26:27], v[0:1]
	v_add_lshl_u32 v22, v12, v20, 4
	v_lshlrev_b64 v[12:13], 4, v[0:1]
	s_mul_i32 s28, s14, s24
	s_mul_i32 s14, s24, s25
	s_mul_hi_u32 s31, s24, s24
	v_add_nc_u32_e32 v23, 0x4000, v22
	v_lshl_add_u32 v33, v21, 9, 0x4000
	s_mul_i32 s29, s24, s24
	s_mov_b32 s30, s21
	s_waitcnt lgkmcnt(0)
	v_mad_u64_u32 v[2:3], null, v0, s10, 0
	v_mad_u64_u32 v[14:15], null, v0, s18, 0
	v_add_co_u32 v24, s2, s16, v12
	s_delay_alu instid0(VALU_DEP_1) | instskip(NEXT) | instid1(VALU_DEP_4)
	v_add_co_ci_u32_e64 v25, s2, s17, v13, s2
	v_dual_mov_b32 v1, v3 :: v_dual_lshlrev_b32 v32, 4, v20
	s_delay_alu instid0(VALU_DEP_4) | instskip(SKIP_1) | instid1(VALU_DEP_3)
	v_mov_b32_e32 v3, v15
	v_add_co_u32 v26, s2, s8, v12
	v_mad_u64_u32 v[15:16], null, v0, s11, v[1:2]
	s_delay_alu instid0(VALU_DEP_3) | instskip(SKIP_3) | instid1(VALU_DEP_3)
	v_mad_u64_u32 v[16:17], null, v0, s19, v[3:4]
	s_bitcmp1_b32 s36, 0
	v_add_co_ci_u32_e64 v27, s2, s9, v13, s2
	s_cselect_b32 s2, -1, 0
	v_mov_b32_e32 v3, v15
	s_add_i32 s26, s15, s3
	s_delay_alu instid0(VALU_DEP_3)
	v_mov_b32_e32 v15, v16
	s_add_i32 s3, s31, s14
	s_xor_b32 s27, s2, -1
	v_lshlrev_b64 v[0:1], 4, v[2:3]
	s_add_i32 s31, s3, s14
	v_lshlrev_b64 v[2:3], 4, v[14:15]
	s_cmp_lg_u32 s37, 0
	v_cmp_lt_i64_e64 s36, s[22:23], s[12:13]
	s_cselect_b32 s33, -1, 0
	v_add_co_u32 v28, s2, s8, v0
	s_or_b32 s35, vcc_lo, s1
	v_add_co_u32 v30, vcc_lo, s16, v2
	v_add_co_ci_u32_e64 v29, s2, s9, v1, s2
	s_and_b32 s34, s34, s0
	v_add_co_ci_u32_e32 v31, vcc_lo, s17, v3, vcc_lo
	s_cmp_lg_u32 s20, 1
	s_mov_b64 s[2:3], 0
	s_cselect_b32 s37, -1, 0
	s_branch .LBB11_14
.LBB11_13:                              ;   in Loop: Header=BB11_14 Depth=1
	s_or_b32 exec_lo, exec_lo, s1
	s_add_u32 s2, s2, 32
	s_addc_u32 s3, s3, 0
	s_delay_alu instid0(SALU_CYCLE_1) | instskip(NEXT) | instid1(VALU_DEP_1)
	v_cmp_lt_i64_e64 s1, s[2:3], s[24:25]
	s_and_b32 vcc_lo, exec_lo, s1
	s_cbranch_vccz .LBB11_60
.LBB11_14:                              ; =>This Loop Header: Depth=1
                                        ;     Child Loop BB11_16 Depth 2
                                        ;       Child Loop BB11_17 Depth 3
                                        ;         Child Loop BB11_46 Depth 4
	v_add_co_u32 v16, s1, s2, v20
	s_delay_alu instid0(VALU_DEP_1) | instskip(SKIP_3) | instid1(VALU_DEP_3)
	v_add_co_ci_u32_e64 v17, null, s3, 0, s1
	v_mov_b32_e32 v12, 0
	v_mov_b32_e32 v13, 0
	s_and_not1_b32 vcc_lo, exec_lo, s36
	v_cmp_gt_i64_e64 s1, s[24:25], v[16:17]
	s_delay_alu instid0(VALU_DEP_2)
	v_dual_mov_b32 v15, v13 :: v_dual_mov_b32 v14, v12
	s_cbranch_vccnz .LBB11_49
; %bb.15:                               ;   in Loop: Header=BB11_14 Depth=1
	v_mul_lo_u32 v2, v17, s24
	v_mul_lo_u32 v3, v16, s25
	v_mad_u64_u32 v[0:1], null, v16, s24, 0
	v_mov_b32_e32 v12, 0
	v_mov_b32_e32 v13, 0
	s_mov_b64 s[8:9], s[22:23]
	s_delay_alu instid0(VALU_DEP_1) | instskip(NEXT) | instid1(VALU_DEP_4)
	v_dual_mov_b32 v15, v13 :: v_dual_mov_b32 v14, v12
	v_add3_u32 v1, v1, v3, v2
	v_lshlrev_b64 v[2:3], 4, v[16:17]
	s_delay_alu instid0(VALU_DEP_2) | instskip(NEXT) | instid1(VALU_DEP_2)
	v_lshlrev_b64 v[0:1], 4, v[0:1]
	v_add_co_u32 v34, vcc_lo, s6, v2
	s_delay_alu instid0(VALU_DEP_3) | instskip(NEXT) | instid1(VALU_DEP_3)
	v_add_co_ci_u32_e32 v35, vcc_lo, s7, v3, vcc_lo
	v_add_co_u32 v36, vcc_lo, s6, v0
	s_delay_alu instid0(VALU_DEP_4)
	v_add_co_ci_u32_e32 v37, vcc_lo, s7, v1, vcc_lo
.LBB11_16:                              ;   Parent Loop BB11_14 Depth=1
                                        ; =>  This Loop Header: Depth=2
                                        ;       Child Loop BB11_17 Depth 3
                                        ;         Child Loop BB11_46 Depth 4
	s_mul_i32 s14, s29, s9
	s_mul_hi_u32 s15, s29, s8
	s_mul_i32 s17, s31, s8
	s_add_i32 s16, s15, s14
	s_lshl_b64 s[14:15], s[8:9], 3
	s_add_i32 s17, s16, s17
	s_add_u32 s14, s4, s14
	s_addc_u32 s15, s5, s15
	s_mul_i32 s16, s29, s8
	s_load_b64 s[14:15], s[14:15], 0x0
	s_waitcnt lgkmcnt(0)
	s_sub_u32 s14, s14, s30
	s_subb_u32 s15, s15, 0
	s_mul_i32 s20, s14, s25
	s_mul_hi_u32 s21, s14, s24
	s_mul_i32 s15, s15, s24
	s_add_i32 s20, s21, s20
	s_lshl_b64 s[16:17], s[16:17], 4
	s_mul_i32 s14, s14, s24
	s_add_i32 s15, s20, s15
	v_add_co_u32 v38, vcc_lo, v34, s16
	s_lshl_b64 s[20:21], s[14:15], 4
	v_add_co_ci_u32_e32 v39, vcc_lo, s17, v35, vcc_lo
	v_add_co_u32 v40, vcc_lo, v28, s20
	v_add_co_ci_u32_e32 v41, vcc_lo, s21, v29, vcc_lo
	v_add_co_u32 v42, vcc_lo, v36, s16
	v_add_co_ci_u32_e32 v43, vcc_lo, s17, v37, vcc_lo
	s_mov_b64 s[16:17], 0
.LBB11_17:                              ;   Parent Loop BB11_14 Depth=1
                                        ;     Parent Loop BB11_16 Depth=2
                                        ; =>    This Loop Header: Depth=3
                                        ;         Child Loop BB11_46 Depth 4
	s_and_b32 vcc_lo, exec_lo, s27
	s_cbranch_vccz .LBB11_23
; %bb.18:                               ;   in Loop: Header=BB11_17 Depth=3
	s_mov_b32 s39, 0
	s_mov_b32 s38, 0
                                        ; implicit-def: $vgpr18_vgpr19
	s_and_saveexec_b32 s20, s0
	s_cbranch_execz .LBB11_22
; %bb.19:                               ;   in Loop: Header=BB11_17 Depth=3
	v_add_co_u32 v0, s21, s16, v20
	s_delay_alu instid0(VALU_DEP_1) | instskip(SKIP_2) | instid1(VALU_DEP_1)
	v_add_co_ci_u32_e64 v1, null, s17, 0, s21
	s_mov_b32 s21, 0
	s_mov_b32 s38, exec_lo
                                        ; implicit-def: $vgpr18_vgpr19
	v_cmpx_gt_i64_e64 s[24:25], v[0:1]
	s_xor_b32 s38, exec_lo, s38
; %bb.20:                               ;   in Loop: Header=BB11_17 Depth=3
	v_add_co_u32 v2, vcc_lo, v0, s14
	v_add_co_ci_u32_e32 v0, vcc_lo, s15, v1, vcc_lo
	s_mov_b32 s21, exec_lo
	s_delay_alu instid0(VALU_DEP_2) | instskip(NEXT) | instid1(VALU_DEP_2)
	v_mul_lo_u32 v18, v2, s11
	v_mul_lo_u32 v3, v0, s10
	v_mad_u64_u32 v[0:1], null, v2, s10, 0
	s_delay_alu instid0(VALU_DEP_1) | instskip(NEXT) | instid1(VALU_DEP_1)
	v_add3_u32 v1, v1, v18, v3
	v_lshlrev_b64 v[0:1], 4, v[0:1]
	s_delay_alu instid0(VALU_DEP_1) | instskip(NEXT) | instid1(VALU_DEP_2)
	v_add_co_u32 v18, vcc_lo, v26, v0
	v_add_co_ci_u32_e32 v19, vcc_lo, v27, v1, vcc_lo
; %bb.21:                               ;   in Loop: Header=BB11_17 Depth=3
	s_or_b32 exec_lo, exec_lo, s38
	s_delay_alu instid0(SALU_CYCLE_1)
	s_and_b32 s38, s21, exec_lo
.LBB11_22:                              ;   in Loop: Header=BB11_17 Depth=3
	s_or_b32 exec_lo, exec_lo, s20
	s_mov_b64 s[20:21], 0
	s_and_b32 vcc_lo, exec_lo, s39
	s_cbranch_vccnz .LBB11_24
	s_branch .LBB11_29
.LBB11_23:                              ;   in Loop: Header=BB11_17 Depth=3
	s_mov_b32 s38, 0
                                        ; implicit-def: $vgpr18_vgpr19
                                        ; implicit-def: $sgpr20_sgpr21
	s_cbranch_execz .LBB11_29
.LBB11_24:                              ;   in Loop: Header=BB11_17 Depth=3
                                        ; implicit-def: $vgpr18_vgpr19
	s_and_saveexec_b32 s20, s0
	s_cbranch_execz .LBB11_28
; %bb.25:                               ;   in Loop: Header=BB11_17 Depth=3
	v_add_co_u32 v0, s21, s16, v20
	s_delay_alu instid0(VALU_DEP_1) | instskip(SKIP_2) | instid1(VALU_DEP_1)
	v_add_co_ci_u32_e64 v1, null, s17, 0, s21
	s_mov_b32 s39, s38
	s_mov_b32 s21, exec_lo
                                        ; implicit-def: $vgpr18_vgpr19
	v_cmpx_gt_i64_e64 s[24:25], v[0:1]
; %bb.26:                               ;   in Loop: Header=BB11_17 Depth=3
	v_lshlrev_b64 v[0:1], 4, v[0:1]
	s_or_b32 s39, s38, exec_lo
	s_delay_alu instid0(VALU_DEP_1) | instskip(NEXT) | instid1(VALU_DEP_2)
	v_add_co_u32 v18, vcc_lo, v40, v0
	v_add_co_ci_u32_e32 v19, vcc_lo, v41, v1, vcc_lo
; %bb.27:                               ;   in Loop: Header=BB11_17 Depth=3
	s_or_b32 exec_lo, exec_lo, s21
	s_delay_alu instid0(SALU_CYCLE_1) | instskip(SKIP_1) | instid1(SALU_CYCLE_1)
	s_and_not1_b32 s21, s38, exec_lo
	s_and_b32 s38, s39, exec_lo
	s_or_b32 s38, s21, s38
.LBB11_28:                              ;   in Loop: Header=BB11_17 Depth=3
	s_or_b32 exec_lo, exec_lo, s20
	s_mov_b64 s[20:21], 0
.LBB11_29:                              ;   in Loop: Header=BB11_17 Depth=3
	s_delay_alu instid0(SALU_CYCLE_1)
	v_dual_mov_b32 v0, s20 :: v_dual_mov_b32 v1, s21
	v_dual_mov_b32 v2, s20 :: v_dual_mov_b32 v3, s21
	s_and_saveexec_b32 s20, s38
	s_cbranch_execz .LBB11_31
; %bb.30:                               ;   in Loop: Header=BB11_17 Depth=3
	global_load_b128 v[0:3], v[18:19], off
.LBB11_31:                              ;   in Loop: Header=BB11_17 Depth=3
	s_or_b32 exec_lo, exec_lo, s20
	s_delay_alu instid0(SALU_CYCLE_1)
	s_and_b32 vcc_lo, exec_lo, s33
	s_waitcnt vmcnt(0)
	ds_store_b128 v23, v[0:3]
	s_cbranch_vccz .LBB11_37
; %bb.32:                               ;   in Loop: Header=BB11_17 Depth=3
	s_mov_b32 s39, 0
	s_mov_b32 s38, 0
                                        ; implicit-def: $vgpr18_vgpr19
	s_and_saveexec_b32 s20, s1
	s_cbranch_execz .LBB11_36
; %bb.33:                               ;   in Loop: Header=BB11_17 Depth=3
	v_add_co_u32 v0, s21, s16, v21
	s_delay_alu instid0(VALU_DEP_1) | instskip(SKIP_2) | instid1(VALU_DEP_1)
	v_add_co_ci_u32_e64 v1, null, s17, 0, s21
	s_mov_b32 s21, 0
	s_mov_b32 s38, exec_lo
                                        ; implicit-def: $vgpr18_vgpr19
	v_cmpx_gt_i64_e64 s[24:25], v[0:1]
	s_xor_b32 s38, exec_lo, s38
; %bb.34:                               ;   in Loop: Header=BB11_17 Depth=3
	v_mul_lo_u32 v3, v1, s24
	v_mul_lo_u32 v18, v0, s25
	v_mad_u64_u32 v[1:2], null, v0, s24, 0
	s_mov_b32 s21, exec_lo
	s_delay_alu instid0(VALU_DEP_1) | instskip(NEXT) | instid1(VALU_DEP_1)
	v_add3_u32 v2, v2, v18, v3
	v_lshlrev_b64 v[0:1], 4, v[1:2]
	s_delay_alu instid0(VALU_DEP_1) | instskip(NEXT) | instid1(VALU_DEP_2)
	v_add_co_u32 v18, vcc_lo, v38, v0
	v_add_co_ci_u32_e32 v19, vcc_lo, v39, v1, vcc_lo
; %bb.35:                               ;   in Loop: Header=BB11_17 Depth=3
	s_or_b32 exec_lo, exec_lo, s38
	s_delay_alu instid0(SALU_CYCLE_1)
	s_and_b32 s38, s21, exec_lo
.LBB11_36:                              ;   in Loop: Header=BB11_17 Depth=3
	s_or_b32 exec_lo, exec_lo, s20
	s_mov_b64 s[20:21], 0
	s_and_b32 vcc_lo, exec_lo, s39
	s_cbranch_vccnz .LBB11_38
	s_branch .LBB11_43
.LBB11_37:                              ;   in Loop: Header=BB11_17 Depth=3
	s_mov_b32 s38, 0
                                        ; implicit-def: $vgpr18_vgpr19
                                        ; implicit-def: $sgpr20_sgpr21
	s_cbranch_execz .LBB11_43
.LBB11_38:                              ;   in Loop: Header=BB11_17 Depth=3
                                        ; implicit-def: $vgpr18_vgpr19
	s_and_saveexec_b32 s20, s1
	s_cbranch_execz .LBB11_42
; %bb.39:                               ;   in Loop: Header=BB11_17 Depth=3
	v_add_co_u32 v0, s21, s16, v21
	s_delay_alu instid0(VALU_DEP_1) | instskip(SKIP_2) | instid1(VALU_DEP_1)
	v_add_co_ci_u32_e64 v1, null, s17, 0, s21
	s_mov_b32 s39, s38
	s_mov_b32 s21, exec_lo
                                        ; implicit-def: $vgpr18_vgpr19
	v_cmpx_gt_i64_e64 s[24:25], v[0:1]
; %bb.40:                               ;   in Loop: Header=BB11_17 Depth=3
	v_lshlrev_b64 v[0:1], 4, v[0:1]
	s_or_b32 s39, s38, exec_lo
	s_delay_alu instid0(VALU_DEP_1) | instskip(NEXT) | instid1(VALU_DEP_2)
	v_add_co_u32 v18, vcc_lo, v42, v0
	v_add_co_ci_u32_e32 v19, vcc_lo, v43, v1, vcc_lo
; %bb.41:                               ;   in Loop: Header=BB11_17 Depth=3
	s_or_b32 exec_lo, exec_lo, s21
	s_delay_alu instid0(SALU_CYCLE_1) | instskip(SKIP_1) | instid1(SALU_CYCLE_1)
	s_and_not1_b32 s21, s38, exec_lo
	s_and_b32 s38, s39, exec_lo
	s_or_b32 s38, s21, s38
.LBB11_42:                              ;   in Loop: Header=BB11_17 Depth=3
	s_or_b32 exec_lo, exec_lo, s20
	s_mov_b64 s[20:21], 0
.LBB11_43:                              ;   in Loop: Header=BB11_17 Depth=3
	s_delay_alu instid0(SALU_CYCLE_1)
	v_dual_mov_b32 v0, s20 :: v_dual_mov_b32 v1, s21
	v_dual_mov_b32 v2, s20 :: v_dual_mov_b32 v3, s21
	s_and_saveexec_b32 s20, s38
	s_cbranch_execz .LBB11_45
; %bb.44:                               ;   in Loop: Header=BB11_17 Depth=3
	global_load_b128 v[0:3], v[18:19], off
.LBB11_45:                              ;   in Loop: Header=BB11_17 Depth=3
	s_or_b32 exec_lo, exec_lo, s20
	s_waitcnt vmcnt(0)
	ds_store_b128 v22, v[0:3]
	v_mov_b32_e32 v0, v32
	s_mov_b32 s20, 0
	s_waitcnt lgkmcnt(0)
	s_waitcnt_vscnt null, 0x0
	s_barrier
	buffer_gl0_inv
.LBB11_46:                              ;   Parent Loop BB11_14 Depth=1
                                        ;     Parent Loop BB11_16 Depth=2
                                        ;       Parent Loop BB11_17 Depth=3
                                        ; =>      This Inner Loop Header: Depth=4
	v_add_nc_u32_e32 v3, s20, v33
	s_add_i32 s20, s20, 64
	ds_load_b128 v[44:47], v0
	ds_load_b128 v[48:51], v3
	ds_load_b128 v[52:55], v0 offset:512
	ds_load_b128 v[56:59], v3 offset:16
	s_cmpk_eq_i32 s20, 0x200
	s_waitcnt lgkmcnt(2)
	v_fma_f64 v[1:2], v[44:45], v[48:49], v[14:15]
	v_fma_f64 v[12:13], v[46:47], v[48:49], v[12:13]
	s_delay_alu instid0(VALU_DEP_2) | instskip(NEXT) | instid1(VALU_DEP_2)
	v_fma_f64 v[1:2], -v[46:47], v[50:51], v[1:2]
	v_fma_f64 v[12:13], v[44:45], v[50:51], v[12:13]
	s_waitcnt lgkmcnt(0)
	s_delay_alu instid0(VALU_DEP_2) | instskip(NEXT) | instid1(VALU_DEP_2)
	v_fma_f64 v[1:2], v[52:53], v[56:57], v[1:2]
	v_fma_f64 v[12:13], v[54:55], v[56:57], v[12:13]
	s_delay_alu instid0(VALU_DEP_2) | instskip(NEXT) | instid1(VALU_DEP_2)
	v_fma_f64 v[1:2], -v[54:55], v[58:59], v[1:2]
	v_fma_f64 v[18:19], v[52:53], v[58:59], v[12:13]
	ds_load_b128 v[12:15], v0 offset:1024
	ds_load_b128 v[44:47], v3 offset:32
	;; [unrolled: 1-line block ×4, first 2 shown]
	v_add_nc_u32_e32 v0, 0x800, v0
	s_waitcnt lgkmcnt(2)
	v_fma_f64 v[1:2], v[12:13], v[44:45], v[1:2]
	v_fma_f64 v[18:19], v[14:15], v[44:45], v[18:19]
	s_delay_alu instid0(VALU_DEP_2) | instskip(NEXT) | instid1(VALU_DEP_2)
	v_fma_f64 v[1:2], -v[14:15], v[46:47], v[1:2]
	v_fma_f64 v[12:13], v[12:13], v[46:47], v[18:19]
	s_waitcnt lgkmcnt(0)
	s_delay_alu instid0(VALU_DEP_2) | instskip(NEXT) | instid1(VALU_DEP_2)
	v_fma_f64 v[1:2], v[48:49], v[52:53], v[1:2]
	v_fma_f64 v[12:13], v[50:51], v[52:53], v[12:13]
	s_delay_alu instid0(VALU_DEP_2) | instskip(NEXT) | instid1(VALU_DEP_2)
	v_fma_f64 v[14:15], -v[50:51], v[54:55], v[1:2]
	v_fma_f64 v[12:13], v[48:49], v[54:55], v[12:13]
	s_cbranch_scc0 .LBB11_46
; %bb.47:                               ;   in Loop: Header=BB11_17 Depth=3
	s_add_u32 s16, s16, 32
	s_addc_u32 s17, s17, 0
	s_delay_alu instid0(SALU_CYCLE_1)
	v_cmp_ge_i64_e64 s20, s[16:17], s[24:25]
	s_barrier
	buffer_gl0_inv
	s_and_b32 vcc_lo, exec_lo, s20
	s_cbranch_vccz .LBB11_17
; %bb.48:                               ;   in Loop: Header=BB11_16 Depth=2
	s_add_u32 s8, s8, 1
	s_addc_u32 s9, s9, 0
	s_delay_alu instid0(SALU_CYCLE_1) | instskip(NEXT) | instid1(VALU_DEP_1)
	v_cmp_ge_i64_e64 s14, s[8:9], s[12:13]
	s_and_b32 vcc_lo, exec_lo, s14
	s_cbranch_vccz .LBB11_16
.LBB11_49:                              ;   in Loop: Header=BB11_14 Depth=1
	v_cmp_gt_i64_e32 vcc_lo, s[24:25], v[16:17]
	s_and_b32 s8, s34, vcc_lo
	s_delay_alu instid0(SALU_CYCLE_1)
	s_and_saveexec_b32 s1, s8
	s_cbranch_execz .LBB11_13
; %bb.50:                               ;   in Loop: Header=BB11_14 Depth=1
	v_add_co_u32 v16, vcc_lo, v16, s28
	v_add_co_ci_u32_e32 v17, vcc_lo, s26, v17, vcc_lo
	s_and_saveexec_b32 s8, s35
	s_delay_alu instid0(SALU_CYCLE_1)
	s_xor_b32 s8, exec_lo, s8
	s_cbranch_execz .LBB11_55
; %bb.51:                               ;   in Loop: Header=BB11_14 Depth=1
	s_and_b32 vcc_lo, exec_lo, s37
	s_mov_b32 s9, -1
	s_cbranch_vccz .LBB11_53
; %bb.52:                               ;   in Loop: Header=BB11_14 Depth=1
	v_mul_lo_u32 v2, v17, s18
	v_mul_lo_u32 v3, v16, s19
	v_mad_u64_u32 v[0:1], null, v16, s18, 0
	v_mul_f64 v[34:35], v[12:13], -v[6:7]
	v_mul_f64 v[36:37], v[4:5], v[12:13]
	s_mov_b32 s9, 0
	s_delay_alu instid0(VALU_DEP_3) | instskip(NEXT) | instid1(VALU_DEP_1)
	v_add3_u32 v1, v1, v3, v2
	v_lshlrev_b64 v[0:1], 4, v[0:1]
	s_delay_alu instid0(VALU_DEP_1) | instskip(NEXT) | instid1(VALU_DEP_2)
	v_add_co_u32 v18, vcc_lo, v24, v0
	v_add_co_ci_u32_e32 v19, vcc_lo, v25, v1, vcc_lo
	global_load_b128 v[0:3], v[18:19], off
	v_fma_f64 v[34:35], v[4:5], v[14:15], v[34:35]
	v_fma_f64 v[36:37], v[6:7], v[14:15], v[36:37]
	s_waitcnt vmcnt(0)
	s_delay_alu instid0(VALU_DEP_2) | instskip(NEXT) | instid1(VALU_DEP_2)
	v_fma_f64 v[34:35], v[8:9], v[0:1], v[34:35]
	v_fma_f64 v[36:37], v[10:11], v[0:1], v[36:37]
	s_delay_alu instid0(VALU_DEP_2) | instskip(NEXT) | instid1(VALU_DEP_2)
	v_fma_f64 v[0:1], -v[10:11], v[2:3], v[34:35]
	v_fma_f64 v[2:3], v[8:9], v[2:3], v[36:37]
	global_store_b128 v[18:19], v[0:3], off
.LBB11_53:                              ;   in Loop: Header=BB11_14 Depth=1
	s_and_not1_b32 vcc_lo, exec_lo, s9
	s_cbranch_vccnz .LBB11_55
; %bb.54:                               ;   in Loop: Header=BB11_14 Depth=1
	v_lshlrev_b64 v[0:1], 4, v[16:17]
	v_mul_f64 v[18:19], v[12:13], -v[6:7]
	v_mul_f64 v[12:13], v[4:5], v[12:13]
	s_delay_alu instid0(VALU_DEP_3) | instskip(NEXT) | instid1(VALU_DEP_4)
	v_add_co_u32 v16, vcc_lo, v30, v0
	v_add_co_ci_u32_e32 v17, vcc_lo, v31, v1, vcc_lo
	global_load_b128 v[0:3], v[16:17], off
	v_fma_f64 v[18:19], v[4:5], v[14:15], v[18:19]
	v_fma_f64 v[12:13], v[6:7], v[14:15], v[12:13]
	s_waitcnt vmcnt(0)
	s_delay_alu instid0(VALU_DEP_2) | instskip(NEXT) | instid1(VALU_DEP_2)
	v_fma_f64 v[14:15], v[8:9], v[0:1], v[18:19]
	v_fma_f64 v[12:13], v[10:11], v[0:1], v[12:13]
	s_delay_alu instid0(VALU_DEP_2) | instskip(NEXT) | instid1(VALU_DEP_2)
	v_fma_f64 v[0:1], -v[10:11], v[2:3], v[14:15]
	v_fma_f64 v[2:3], v[8:9], v[2:3], v[12:13]
                                        ; implicit-def: $vgpr12_vgpr13
                                        ; implicit-def: $vgpr14_vgpr15
	global_store_b128 v[16:17], v[0:3], off
                                        ; implicit-def: $vgpr16_vgpr17
.LBB11_55:                              ;   in Loop: Header=BB11_14 Depth=1
	s_and_not1_saveexec_b32 s8, s8
	s_cbranch_execz .LBB11_13
; %bb.56:                               ;   in Loop: Header=BB11_14 Depth=1
	v_mul_f64 v[0:1], v[12:13], -v[6:7]
	v_mul_f64 v[2:3], v[4:5], v[12:13]
	s_and_b32 vcc_lo, exec_lo, s37
	s_mov_b32 s8, -1
	s_delay_alu instid0(VALU_DEP_2) | instskip(NEXT) | instid1(VALU_DEP_2)
	v_fma_f64 v[0:1], v[4:5], v[14:15], v[0:1]
	v_fma_f64 v[2:3], v[6:7], v[14:15], v[2:3]
	s_cbranch_vccz .LBB11_58
; %bb.57:                               ;   in Loop: Header=BB11_14 Depth=1
	v_mul_lo_u32 v14, v17, s18
	v_mul_lo_u32 v15, v16, s19
	v_mad_u64_u32 v[12:13], null, v16, s18, 0
	s_mov_b32 s8, 0
	s_delay_alu instid0(VALU_DEP_1) | instskip(NEXT) | instid1(VALU_DEP_1)
	v_add3_u32 v13, v13, v15, v14
	v_lshlrev_b64 v[12:13], 4, v[12:13]
	s_delay_alu instid0(VALU_DEP_1) | instskip(NEXT) | instid1(VALU_DEP_2)
	v_add_co_u32 v12, vcc_lo, v24, v12
	v_add_co_ci_u32_e32 v13, vcc_lo, v25, v13, vcc_lo
	global_store_b128 v[12:13], v[0:3], off
.LBB11_58:                              ;   in Loop: Header=BB11_14 Depth=1
	s_and_not1_b32 vcc_lo, exec_lo, s8
	s_cbranch_vccnz .LBB11_13
; %bb.59:                               ;   in Loop: Header=BB11_14 Depth=1
	v_lshlrev_b64 v[12:13], 4, v[16:17]
	s_delay_alu instid0(VALU_DEP_1) | instskip(NEXT) | instid1(VALU_DEP_2)
	v_add_co_u32 v12, vcc_lo, v30, v12
	v_add_co_ci_u32_e32 v13, vcc_lo, v31, v13, vcc_lo
	global_store_b128 v[12:13], v[0:3], off
	s_branch .LBB11_13
.LBB11_60:
	s_nop 0
	s_sendmsg sendmsg(MSG_DEALLOC_VGPRS)
	s_endpgm
	.section	.rodata,"a",@progbits
	.p2align	6, 0x0
	.amdhsa_kernel _ZN9rocsparseL29bsrmm_general_blockdim_kernelILj32ELj32Ell21rocsparse_complex_numIdES2_S2_S2_EEvb20rocsparse_direction_T2_S4_llNS_24const_host_device_scalarIT6_EEPKT1_PKS4_PKT3_S4_PKT4_llS7_PT5_ll16rocsparse_order_21rocsparse_index_base_b
		.amdhsa_group_segment_fixed_size 49152
		.amdhsa_private_segment_fixed_size 0
		.amdhsa_kernarg_size 164
		.amdhsa_user_sgpr_count 14
		.amdhsa_user_sgpr_dispatch_ptr 1
		.amdhsa_user_sgpr_queue_ptr 0
		.amdhsa_user_sgpr_kernarg_segment_ptr 1
		.amdhsa_user_sgpr_dispatch_id 0
		.amdhsa_user_sgpr_private_segment_size 0
		.amdhsa_wavefront_size32 1
		.amdhsa_uses_dynamic_stack 0
		.amdhsa_enable_private_segment 0
		.amdhsa_system_sgpr_workgroup_id_x 1
		.amdhsa_system_sgpr_workgroup_id_y 1
		.amdhsa_system_sgpr_workgroup_id_z 0
		.amdhsa_system_sgpr_workgroup_info 0
		.amdhsa_system_vgpr_workitem_id 2
		.amdhsa_next_free_vgpr 60
		.amdhsa_next_free_sgpr 40
		.amdhsa_reserve_vcc 1
		.amdhsa_float_round_mode_32 0
		.amdhsa_float_round_mode_16_64 0
		.amdhsa_float_denorm_mode_32 3
		.amdhsa_float_denorm_mode_16_64 3
		.amdhsa_dx10_clamp 1
		.amdhsa_ieee_mode 1
		.amdhsa_fp16_overflow 0
		.amdhsa_workgroup_processor_mode 1
		.amdhsa_memory_ordered 1
		.amdhsa_forward_progress 0
		.amdhsa_shared_vgpr_count 0
		.amdhsa_exception_fp_ieee_invalid_op 0
		.amdhsa_exception_fp_denorm_src 0
		.amdhsa_exception_fp_ieee_div_zero 0
		.amdhsa_exception_fp_ieee_overflow 0
		.amdhsa_exception_fp_ieee_underflow 0
		.amdhsa_exception_fp_ieee_inexact 0
		.amdhsa_exception_int_div_zero 0
	.end_amdhsa_kernel
	.section	.text._ZN9rocsparseL29bsrmm_general_blockdim_kernelILj32ELj32Ell21rocsparse_complex_numIdES2_S2_S2_EEvb20rocsparse_direction_T2_S4_llNS_24const_host_device_scalarIT6_EEPKT1_PKS4_PKT3_S4_PKT4_llS7_PT5_ll16rocsparse_order_21rocsparse_index_base_b,"axG",@progbits,_ZN9rocsparseL29bsrmm_general_blockdim_kernelILj32ELj32Ell21rocsparse_complex_numIdES2_S2_S2_EEvb20rocsparse_direction_T2_S4_llNS_24const_host_device_scalarIT6_EEPKT1_PKS4_PKT3_S4_PKT4_llS7_PT5_ll16rocsparse_order_21rocsparse_index_base_b,comdat
.Lfunc_end11:
	.size	_ZN9rocsparseL29bsrmm_general_blockdim_kernelILj32ELj32Ell21rocsparse_complex_numIdES2_S2_S2_EEvb20rocsparse_direction_T2_S4_llNS_24const_host_device_scalarIT6_EEPKT1_PKS4_PKT3_S4_PKT4_llS7_PT5_ll16rocsparse_order_21rocsparse_index_base_b, .Lfunc_end11-_ZN9rocsparseL29bsrmm_general_blockdim_kernelILj32ELj32Ell21rocsparse_complex_numIdES2_S2_S2_EEvb20rocsparse_direction_T2_S4_llNS_24const_host_device_scalarIT6_EEPKT1_PKS4_PKT3_S4_PKT4_llS7_PT5_ll16rocsparse_order_21rocsparse_index_base_b
                                        ; -- End function
	.section	.AMDGPU.csdata,"",@progbits
; Kernel info:
; codeLenInByte = 2800
; NumSgprs: 42
; NumVgprs: 60
; ScratchSize: 0
; MemoryBound: 1
; FloatMode: 240
; IeeeMode: 1
; LDSByteSize: 49152 bytes/workgroup (compile time only)
; SGPRBlocks: 5
; VGPRBlocks: 7
; NumSGPRsForWavesPerEU: 42
; NumVGPRsForWavesPerEU: 60
; Occupancy: 16
; WaveLimiterHint : 1
; COMPUTE_PGM_RSRC2:SCRATCH_EN: 0
; COMPUTE_PGM_RSRC2:USER_SGPR: 14
; COMPUTE_PGM_RSRC2:TRAP_HANDLER: 0
; COMPUTE_PGM_RSRC2:TGID_X_EN: 1
; COMPUTE_PGM_RSRC2:TGID_Y_EN: 1
; COMPUTE_PGM_RSRC2:TGID_Z_EN: 0
; COMPUTE_PGM_RSRC2:TIDIG_COMP_CNT: 2
	.section	.text._ZN9rocsparseL29bsrmm_general_blockdim_kernelILj32ELj32EiiDF16_DF16_ffEEvb20rocsparse_direction_T2_S2_llNS_24const_host_device_scalarIT6_EEPKT1_PKS2_PKT3_S2_PKT4_llS5_PT5_ll16rocsparse_order_21rocsparse_index_base_b,"axG",@progbits,_ZN9rocsparseL29bsrmm_general_blockdim_kernelILj32ELj32EiiDF16_DF16_ffEEvb20rocsparse_direction_T2_S2_llNS_24const_host_device_scalarIT6_EEPKT1_PKS2_PKT3_S2_PKT4_llS5_PT5_ll16rocsparse_order_21rocsparse_index_base_b,comdat
	.globl	_ZN9rocsparseL29bsrmm_general_blockdim_kernelILj32ELj32EiiDF16_DF16_ffEEvb20rocsparse_direction_T2_S2_llNS_24const_host_device_scalarIT6_EEPKT1_PKS2_PKT3_S2_PKT4_llS5_PT5_ll16rocsparse_order_21rocsparse_index_base_b ; -- Begin function _ZN9rocsparseL29bsrmm_general_blockdim_kernelILj32ELj32EiiDF16_DF16_ffEEvb20rocsparse_direction_T2_S2_llNS_24const_host_device_scalarIT6_EEPKT1_PKS2_PKT3_S2_PKT4_llS5_PT5_ll16rocsparse_order_21rocsparse_index_base_b
	.p2align	8
	.type	_ZN9rocsparseL29bsrmm_general_blockdim_kernelILj32ELj32EiiDF16_DF16_ffEEvb20rocsparse_direction_T2_S2_llNS_24const_host_device_scalarIT6_EEPKT1_PKS2_PKT3_S2_PKT4_llS5_PT5_ll16rocsparse_order_21rocsparse_index_base_b,@function
_ZN9rocsparseL29bsrmm_general_blockdim_kernelILj32ELj32EiiDF16_DF16_ffEEvb20rocsparse_direction_T2_S2_llNS_24const_host_device_scalarIT6_EEPKT1_PKS2_PKT3_S2_PKT4_llS5_PT5_ll16rocsparse_order_21rocsparse_index_base_b: ; @_ZN9rocsparseL29bsrmm_general_blockdim_kernelILj32ELj32EiiDF16_DF16_ffEEvb20rocsparse_direction_T2_S2_llNS_24const_host_device_scalarIT6_EEPKT1_PKS2_PKT3_S2_PKT4_llS5_PT5_ll16rocsparse_order_21rocsparse_index_base_b
; %bb.0:
	s_clause 0x2
	s_load_b128 s[4:7], s[0:1], 0x80
	s_load_b64 s[12:13], s[0:1], 0x20
	s_load_b64 s[28:29], s[0:1], 0x60
	s_mov_b32 s2, s15
	s_waitcnt lgkmcnt(0)
	s_bitcmp1_b32 s6, 0
	s_cselect_b32 s3, -1, 0
	s_delay_alu instid0(SALU_CYCLE_1)
	s_and_b32 vcc_lo, exec_lo, s3
	s_xor_b32 s3, s3, -1
	s_cbranch_vccnz .LBB12_2
; %bb.1:
	s_load_b32 s12, s[12:13], 0x0
.LBB12_2:
	s_and_not1_b32 vcc_lo, exec_lo, s3
	s_cbranch_vccnz .LBB12_4
; %bb.3:
	s_load_b32 s28, s[28:29], 0x0
.LBB12_4:
	s_waitcnt lgkmcnt(0)
	v_cmp_eq_f32_e64 s3, s12, 0
	v_cmp_eq_f32_e64 s6, s28, 1.0
	s_mov_b32 s13, 0
	s_delay_alu instid0(VALU_DEP_1) | instskip(NEXT) | instid1(SALU_CYCLE_1)
	s_and_b32 s3, s3, s6
	s_and_b32 vcc_lo, exec_lo, s3
	s_cbranch_vccnz .LBB12_57
; %bb.5:
	s_clause 0x1
	s_load_b128 s[24:27], s[0:1], 0x0
	s_load_b64 s[6:7], s[0:1], 0x28
	s_waitcnt lgkmcnt(0)
	s_cmp_lt_i32 s14, s26
	s_cselect_b32 s3, -1, 0
	s_cmp_ge_i32 s14, s26
	s_cbranch_scc0 .LBB12_8
; %bb.6:
	s_and_not1_b32 vcc_lo, exec_lo, s3
	s_mov_b32 s15, 0
	s_cbranch_vccz .LBB12_9
.LBB12_7:
	s_load_b32 s6, s[0:1], 0x40
	s_waitcnt lgkmcnt(0)
	s_cmp_lt_i32 s6, 1
	s_cbranch_scc0 .LBB12_10
	s_branch .LBB12_57
.LBB12_8:
	s_ashr_i32 s15, s14, 31
	s_delay_alu instid0(SALU_CYCLE_1) | instskip(NEXT) | instid1(SALU_CYCLE_1)
	s_lshl_b64 s[8:9], s[14:15], 2
	s_add_u32 s8, s6, s8
	s_addc_u32 s9, s7, s9
	s_load_b32 s8, s[8:9], 0x0
	s_waitcnt lgkmcnt(0)
	s_sub_i32 s13, s8, s5
	s_and_not1_b32 vcc_lo, exec_lo, s3
	s_mov_b32 s15, 0
	s_cbranch_vccnz .LBB12_7
.LBB12_9:
	s_ashr_i32 s15, s14, 31
	s_delay_alu instid0(SALU_CYCLE_1) | instskip(NEXT) | instid1(SALU_CYCLE_1)
	s_lshl_b64 s[8:9], s[14:15], 2
	s_add_u32 s6, s6, s8
	s_addc_u32 s7, s7, s9
	s_load_b32 s6, s[6:7], 0x4
	s_waitcnt lgkmcnt(0)
	s_sub_i32 s15, s6, s5
	s_load_b32 s6, s[0:1], 0x40
	s_waitcnt lgkmcnt(0)
	s_cmp_lt_i32 s6, 1
	s_cbranch_scc1 .LBB12_57
.LBB12_10:
	s_load_b128 s[8:11], s[0:1], 0x48
	v_bfe_u32 v1, v0, 10, 10
	s_clause 0x1
	s_load_b128 s[16:19], s[0:1], 0x30
	s_load_b128 s[20:23], s[0:1], 0x68
	v_and_b32_e32 v0, 0x3ff, v0
	s_bitcmp1_b32 s24, 0
	s_mul_i32 s7, s14, s6
	v_lshl_add_u32 v2, s2, 5, v1
	v_lshlrev_b32_e32 v6, 5, v1
	s_cselect_b32 s0, -1, 0
	v_mad_u64_u32 v[17:18], null, s13, s6, v[0:1]
	s_delay_alu instid0(VALU_DEP_3) | instskip(NEXT) | instid1(VALU_DEP_3)
	v_ashrrev_i32_e32 v3, 31, v2
	v_add_lshl_u32 v7, v6, v0, 2
	s_xor_b32 s14, s0, -1
	v_cmp_gt_i32_e64 s0, s27, v2
	s_cmp_lt_i32 s13, s15
	v_lshlrev_b64 v[9:10], 1, v[2:3]
	s_cselect_b32 s24, -1, 0
	s_cmp_lg_u32 s25, 0
	v_lshl_add_u32 v18, v1, 7, 0x1000
	s_waitcnt lgkmcnt(0)
	v_mul_lo_u32 v8, v3, s10
	v_mul_lo_u32 v11, v2, s11
	v_mad_u64_u32 v[4:5], null, v2, s10, 0
	v_mul_lo_u32 v6, v3, s22
	v_mul_lo_u32 v12, v2, s23
	v_mad_u64_u32 v[13:14], null, v2, s22, 0
	v_add_co_u32 v9, vcc_lo, s8, v9
	v_add3_u32 v5, v5, v11, v8
	v_add_co_ci_u32_e32 v10, vcc_lo, s9, v10, vcc_lo
	v_lshlrev_b64 v[2:3], 2, v[2:3]
	v_add3_u32 v14, v14, v12, v6
	s_delay_alu instid0(VALU_DEP_4) | instskip(SKIP_3) | instid1(VALU_DEP_2)
	v_lshlrev_b64 v[4:5], 1, v[4:5]
	s_cselect_b32 s26, -1, 0
	v_add_nc_u32_e32 v8, 0x1000, v7
	s_mov_b32 s25, 0
	v_add_co_u32 v11, vcc_lo, s8, v4
	s_delay_alu instid0(VALU_DEP_3) | instskip(SKIP_4) | instid1(VALU_DEP_4)
	v_add_co_ci_u32_e32 v12, vcc_lo, s9, v5, vcc_lo
	v_lshlrev_b64 v[4:5], 2, v[13:14]
	v_add_co_u32 v13, vcc_lo, s20, v2
	v_add_co_ci_u32_e32 v14, vcc_lo, s21, v3, vcc_lo
	v_mad_u64_u32 v[2:3], null, s6, v17, v[1:2]
	v_add_co_u32 v15, vcc_lo, s20, v4
	s_and_b32 s8, s3, s0
	v_cmp_neq_f32_e64 s9, s28, 0
	v_add_co_ci_u32_e32 v16, vcc_lo, s21, v5, vcc_lo
	v_lshlrev_b32_e32 v17, 2, v0
	s_cmp_lg_u32 s4, 1
	s_mul_i32 s21, s6, s6
	s_cselect_b32 s4, -1, 0
	s_lshl_b32 s20, s6, 5
	s_branch .LBB12_12
.LBB12_11:                              ;   in Loop: Header=BB12_12 Depth=1
	s_or_b32 exec_lo, exec_lo, s1
	v_add_nc_u32_e32 v2, s20, v2
	s_add_i32 s25, s25, 32
	s_delay_alu instid0(SALU_CYCLE_1)
	s_cmp_lt_i32 s25, s6
	s_cbranch_scc0 .LBB12_57
.LBB12_12:                              ; =>This Loop Header: Depth=1
                                        ;     Child Loop BB12_15 Depth 2
                                        ;       Child Loop BB12_17 Depth 3
	v_add_nc_u32_e32 v3, s25, v0
	v_mov_b32_e32 v19, 0
	s_and_not1_b32 vcc_lo, exec_lo, s24
	s_delay_alu instid0(VALU_DEP_2)
	v_cmp_gt_i32_e64 s1, s6, v3
	s_cbranch_vccnz .LBB12_45
; %bb.13:                               ;   in Loop: Header=BB12_12 Depth=1
	v_dual_mov_b32 v19, 0 :: v_dual_mov_b32 v20, v2
	s_mov_b32 s2, s13
	s_branch .LBB12_15
.LBB12_14:                              ;   in Loop: Header=BB12_15 Depth=2
	v_add_nc_u32_e32 v20, s21, v20
	s_add_i32 s2, s2, 1
	s_delay_alu instid0(SALU_CYCLE_1)
	s_cmp_ge_i32 s2, s15
	s_cbranch_scc1 .LBB12_45
.LBB12_15:                              ;   Parent Loop BB12_12 Depth=1
                                        ; =>  This Loop Header: Depth=2
                                        ;       Child Loop BB12_17 Depth 3
	s_ashr_i32 s3, s2, 31
	s_mov_b32 s27, 0
	s_lshl_b64 s[30:31], s[2:3], 2
	s_delay_alu instid0(SALU_CYCLE_1) | instskip(SKIP_4) | instid1(SALU_CYCLE_1)
	s_add_u32 s30, s16, s30
	s_addc_u32 s31, s17, s31
	s_load_b32 s3, s[30:31], 0x0
	s_waitcnt lgkmcnt(0)
	s_sub_i32 s3, s3, s5
	v_mad_u64_u32 v[4:5], null, s3, s6, v[0:1]
	s_mul_i32 s3, s2, s6
	s_branch .LBB12_17
.LBB12_16:                              ;   in Loop: Header=BB12_17 Depth=3
	s_or_b32 exec_lo, exec_lo, s30
	ds_store_b32 v7, v6
	s_waitcnt lgkmcnt(0)
	s_waitcnt_vscnt null, 0x0
	s_barrier
	buffer_gl0_inv
	ds_load_2addr_b32 v[5:6], v17 offset1:32
	ds_load_b128 v[21:24], v18
	ds_load_2addr_b32 v[29:30], v17 offset0:64 offset1:96
	ds_load_b128 v[25:28], v18 offset:16
	ds_load_2addr_b32 v[31:32], v17 offset0:128 offset1:160
	v_add_nc_u32_e32 v33, 0x400, v17
	s_add_i32 s27, s27, 32
	s_delay_alu instid0(SALU_CYCLE_1) | instskip(SKIP_2) | instid1(VALU_DEP_1)
	s_cmp_ge_i32 s27, s6
	s_waitcnt lgkmcnt(3)
	v_fmac_f32_e32 v19, v5, v21
	v_fmac_f32_e32 v19, v6, v22
	ds_load_2addr_b32 v[5:6], v17 offset0:192 offset1:224
	s_waitcnt lgkmcnt(3)
	v_fmac_f32_e32 v19, v29, v23
	s_delay_alu instid0(VALU_DEP_1) | instskip(SKIP_4) | instid1(VALU_DEP_1)
	v_fmac_f32_e32 v19, v30, v24
	ds_load_2addr_b32 v[29:30], v33 offset1:32
	ds_load_b128 v[21:24], v18 offset:32
	s_waitcnt lgkmcnt(3)
	v_fmac_f32_e32 v19, v31, v25
	v_fmac_f32_e32 v19, v32, v26
	ds_load_2addr_b32 v[31:32], v33 offset0:64 offset1:96
	s_waitcnt lgkmcnt(3)
	v_fmac_f32_e32 v19, v5, v27
	s_delay_alu instid0(VALU_DEP_1) | instskip(SKIP_4) | instid1(VALU_DEP_1)
	v_fmac_f32_e32 v19, v6, v28
	ds_load_b128 v[25:28], v18 offset:48
	ds_load_2addr_b32 v[5:6], v33 offset0:128 offset1:160
	s_waitcnt lgkmcnt(3)
	v_fmac_f32_e32 v19, v29, v21
	v_fmac_f32_e32 v19, v30, v22
	ds_load_2addr_b32 v[29:30], v33 offset0:192 offset1:224
	v_add_nc_u32_e32 v33, 0x800, v17
	s_waitcnt lgkmcnt(3)
	v_fmac_f32_e32 v19, v31, v23
	s_delay_alu instid0(VALU_DEP_1) | instskip(SKIP_4) | instid1(VALU_DEP_1)
	v_fmac_f32_e32 v19, v32, v24
	ds_load_2addr_b32 v[31:32], v33 offset1:32
	ds_load_b128 v[21:24], v18 offset:64
	s_waitcnt lgkmcnt(3)
	v_fmac_f32_e32 v19, v5, v25
	v_fmac_f32_e32 v19, v6, v26
	ds_load_2addr_b32 v[5:6], v33 offset0:64 offset1:96
	s_waitcnt lgkmcnt(3)
	v_fmac_f32_e32 v19, v29, v27
	s_delay_alu instid0(VALU_DEP_1) | instskip(SKIP_4) | instid1(VALU_DEP_1)
	v_fmac_f32_e32 v19, v30, v28
	ds_load_b128 v[25:28], v18 offset:80
	ds_load_2addr_b32 v[29:30], v33 offset0:128 offset1:160
	s_waitcnt lgkmcnt(3)
	v_fmac_f32_e32 v19, v31, v21
	v_fmac_f32_e32 v19, v32, v22
	ds_load_2addr_b32 v[31:32], v33 offset0:192 offset1:224
	v_add_nc_u32_e32 v33, 0xc00, v17
	s_waitcnt lgkmcnt(3)
	v_fmac_f32_e32 v19, v5, v23
	s_delay_alu instid0(VALU_DEP_1) | instskip(SKIP_4) | instid1(VALU_DEP_1)
	v_fmac_f32_e32 v19, v6, v24
	ds_load_2addr_b32 v[5:6], v33 offset1:32
	ds_load_b128 v[21:24], v18 offset:96
	s_waitcnt lgkmcnt(3)
	v_fmac_f32_e32 v19, v29, v25
	v_fmac_f32_e32 v19, v30, v26
	ds_load_2addr_b32 v[29:30], v33 offset0:64 offset1:96
	s_waitcnt lgkmcnt(3)
	v_fmac_f32_e32 v19, v31, v27
	s_delay_alu instid0(VALU_DEP_1) | instskip(SKIP_4) | instid1(VALU_DEP_1)
	v_fmac_f32_e32 v19, v32, v28
	ds_load_b128 v[25:28], v18 offset:112
	ds_load_2addr_b32 v[31:32], v33 offset0:128 offset1:160
	s_waitcnt lgkmcnt(3)
	v_fmac_f32_e32 v19, v5, v21
	v_fmac_f32_e32 v19, v6, v22
	ds_load_2addr_b32 v[5:6], v33 offset0:192 offset1:224
	s_waitcnt lgkmcnt(0)
	s_barrier
	buffer_gl0_inv
	v_fmac_f32_e32 v19, v29, v23
	s_delay_alu instid0(VALU_DEP_1) | instskip(NEXT) | instid1(VALU_DEP_1)
	v_fmac_f32_e32 v19, v30, v24
	v_fmac_f32_e32 v19, v31, v25
	s_delay_alu instid0(VALU_DEP_1) | instskip(NEXT) | instid1(VALU_DEP_1)
	v_fmac_f32_e32 v19, v32, v26
	v_fmac_f32_e32 v19, v5, v27
	s_delay_alu instid0(VALU_DEP_1)
	v_fmac_f32_e32 v19, v6, v28
	s_cbranch_scc1 .LBB12_14
.LBB12_17:                              ;   Parent Loop BB12_12 Depth=1
                                        ;     Parent Loop BB12_15 Depth=2
                                        ; =>    This Inner Loop Header: Depth=3
	s_and_b32 vcc_lo, exec_lo, s14
	s_cbranch_vccz .LBB12_23
; %bb.18:                               ;   in Loop: Header=BB12_17 Depth=3
	s_mov_b32 s30, 0
	s_mov_b32 s29, 0
                                        ; implicit-def: $vgpr5_vgpr6
	s_and_saveexec_b32 s31, s0
	s_cbranch_execz .LBB12_22
; %bb.19:                               ;   in Loop: Header=BB12_17 Depth=3
	v_add_nc_u32_e32 v5, s27, v0
	s_delay_alu instid0(VALU_DEP_1) | instskip(SKIP_1) | instid1(SALU_CYCLE_1)
	v_cmp_gt_i32_e32 vcc_lo, s6, v5
                                        ; implicit-def: $vgpr5_vgpr6
	s_and_saveexec_b32 s33, vcc_lo
	s_xor_b32 s33, exec_lo, s33
; %bb.20:                               ;   in Loop: Header=BB12_17 Depth=3
	v_add_nc_u32_e32 v21, s27, v4
	s_mov_b32 s29, exec_lo
	s_delay_alu instid0(VALU_DEP_1) | instskip(SKIP_2) | instid1(VALU_DEP_3)
	v_ashrrev_i32_e32 v22, 31, v21
	v_mul_lo_u32 v23, v21, s11
	v_mad_u64_u32 v[5:6], null, v21, s10, 0
	v_mul_lo_u32 v21, v22, s10
	s_delay_alu instid0(VALU_DEP_1) | instskip(NEXT) | instid1(VALU_DEP_1)
	v_add3_u32 v6, v6, v23, v21
	v_lshlrev_b64 v[5:6], 1, v[5:6]
	s_delay_alu instid0(VALU_DEP_1) | instskip(NEXT) | instid1(VALU_DEP_2)
	v_add_co_u32 v5, vcc_lo, v9, v5
	v_add_co_ci_u32_e32 v6, vcc_lo, v10, v6, vcc_lo
; %bb.21:                               ;   in Loop: Header=BB12_17 Depth=3
	s_or_b32 exec_lo, exec_lo, s33
	s_delay_alu instid0(SALU_CYCLE_1)
	s_and_b32 s29, s29, exec_lo
.LBB12_22:                              ;   in Loop: Header=BB12_17 Depth=3
	s_or_b32 exec_lo, exec_lo, s31
	s_delay_alu instid0(SALU_CYCLE_1)
	s_and_b32 vcc_lo, exec_lo, s30
	s_cbranch_vccnz .LBB12_24
	s_branch .LBB12_29
.LBB12_23:                              ;   in Loop: Header=BB12_17 Depth=3
	s_mov_b32 s30, -1
	s_mov_b32 s29, 0
                                        ; implicit-def: $vgpr5_vgpr6
	s_cbranch_execz .LBB12_29
.LBB12_24:                              ;   in Loop: Header=BB12_17 Depth=3
                                        ; implicit-def: $vgpr5_vgpr6
	s_and_saveexec_b32 s30, s0
	s_cbranch_execz .LBB12_28
; %bb.25:                               ;   in Loop: Header=BB12_17 Depth=3
	v_add_nc_u32_e32 v5, s27, v0
	s_mov_b32 s33, s29
	s_delay_alu instid0(VALU_DEP_1)
	v_cmp_gt_i32_e32 vcc_lo, s6, v5
                                        ; implicit-def: $vgpr5_vgpr6
	s_and_saveexec_b32 s31, vcc_lo
; %bb.26:                               ;   in Loop: Header=BB12_17 Depth=3
	v_add_nc_u32_e32 v5, s27, v4
	s_or_b32 s33, s29, exec_lo
	s_delay_alu instid0(VALU_DEP_1) | instskip(NEXT) | instid1(VALU_DEP_1)
	v_ashrrev_i32_e32 v6, 31, v5
	v_lshlrev_b64 v[5:6], 1, v[5:6]
	s_delay_alu instid0(VALU_DEP_1) | instskip(NEXT) | instid1(VALU_DEP_2)
	v_add_co_u32 v5, vcc_lo, v11, v5
	v_add_co_ci_u32_e32 v6, vcc_lo, v12, v6, vcc_lo
; %bb.27:                               ;   in Loop: Header=BB12_17 Depth=3
	s_or_b32 exec_lo, exec_lo, s31
	s_delay_alu instid0(SALU_CYCLE_1) | instskip(SKIP_1) | instid1(SALU_CYCLE_1)
	s_and_not1_b32 s29, s29, exec_lo
	s_and_b32 s31, s33, exec_lo
	s_or_b32 s29, s29, s31
.LBB12_28:                              ;   in Loop: Header=BB12_17 Depth=3
	s_or_b32 exec_lo, exec_lo, s30
	s_mov_b32 s30, 0
.LBB12_29:                              ;   in Loop: Header=BB12_17 Depth=3
	s_delay_alu instid0(SALU_CYCLE_1)
	v_mov_b32_e32 v21, s30
	s_and_saveexec_b32 s30, s29
	s_cbranch_execnz .LBB12_37
; %bb.30:                               ;   in Loop: Header=BB12_17 Depth=3
	s_or_b32 exec_lo, exec_lo, s30
	s_delay_alu instid0(SALU_CYCLE_1)
	s_and_b32 vcc_lo, exec_lo, s26
	ds_store_b32 v8, v21
	s_cbranch_vccz .LBB12_38
.LBB12_31:                              ;   in Loop: Header=BB12_17 Depth=3
	s_mov_b32 s30, 0
	s_mov_b32 s29, 0
                                        ; implicit-def: $vgpr5
	s_and_saveexec_b32 s31, s1
	s_cbranch_execz .LBB12_35
; %bb.32:                               ;   in Loop: Header=BB12_17 Depth=3
	v_add_nc_u32_e32 v6, s27, v1
	s_mov_b32 s33, exec_lo
                                        ; implicit-def: $vgpr5
	s_delay_alu instid0(VALU_DEP_1)
	v_cmpx_gt_i32_e64 s6, v6
	s_xor_b32 s33, exec_lo, s33
; %bb.33:                               ;   in Loop: Header=BB12_17 Depth=3
	v_add_nc_u32_e32 v21, s3, v6
	s_mov_b32 s29, exec_lo
	s_delay_alu instid0(VALU_DEP_1)
	v_mad_u64_u32 v[5:6], null, v21, s6, v[3:4]
; %bb.34:                               ;   in Loop: Header=BB12_17 Depth=3
	s_or_b32 exec_lo, exec_lo, s33
	s_delay_alu instid0(SALU_CYCLE_1)
	s_and_b32 s29, s29, exec_lo
.LBB12_35:                              ;   in Loop: Header=BB12_17 Depth=3
	s_or_b32 exec_lo, exec_lo, s31
	s_delay_alu instid0(SALU_CYCLE_1)
	s_and_b32 vcc_lo, exec_lo, s30
	s_cbranch_vccnz .LBB12_39
.LBB12_36:                              ;   in Loop: Header=BB12_17 Depth=3
	v_mov_b32_e32 v6, s30
	s_and_saveexec_b32 s30, s29
	s_cbranch_execz .LBB12_16
	s_branch .LBB12_44
.LBB12_37:                              ;   in Loop: Header=BB12_17 Depth=3
	global_load_u16 v5, v[5:6], off
	s_waitcnt vmcnt(0)
	v_cvt_f32_f16_e32 v21, v5
	s_or_b32 exec_lo, exec_lo, s30
	s_delay_alu instid0(SALU_CYCLE_1)
	s_and_b32 vcc_lo, exec_lo, s26
	ds_store_b32 v8, v21
	s_cbranch_vccnz .LBB12_31
.LBB12_38:                              ;   in Loop: Header=BB12_17 Depth=3
	s_mov_b32 s30, -1
	s_mov_b32 s29, 0
                                        ; implicit-def: $vgpr5
	s_cbranch_execz .LBB12_36
.LBB12_39:                              ;   in Loop: Header=BB12_17 Depth=3
                                        ; implicit-def: $vgpr5
	s_and_saveexec_b32 s30, s1
	s_cbranch_execz .LBB12_43
; %bb.40:                               ;   in Loop: Header=BB12_17 Depth=3
	v_add_nc_u32_e32 v5, s27, v1
	s_mov_b32 s31, s29
	s_delay_alu instid0(VALU_DEP_1)
	v_cmp_gt_i32_e32 vcc_lo, s6, v5
                                        ; implicit-def: $vgpr5
	s_and_saveexec_b32 s33, vcc_lo
; %bb.41:                               ;   in Loop: Header=BB12_17 Depth=3
	v_add_nc_u32_e32 v5, s27, v20
	s_or_b32 s31, s29, exec_lo
; %bb.42:                               ;   in Loop: Header=BB12_17 Depth=3
	s_or_b32 exec_lo, exec_lo, s33
	s_delay_alu instid0(SALU_CYCLE_1) | instskip(SKIP_1) | instid1(SALU_CYCLE_1)
	s_and_not1_b32 s29, s29, exec_lo
	s_and_b32 s31, s31, exec_lo
	s_or_b32 s29, s29, s31
.LBB12_43:                              ;   in Loop: Header=BB12_17 Depth=3
	s_or_b32 exec_lo, exec_lo, s30
	s_mov_b32 s30, 0
	s_delay_alu instid0(SALU_CYCLE_1)
	v_mov_b32_e32 v6, s30
	s_and_saveexec_b32 s30, s29
	s_cbranch_execz .LBB12_16
.LBB12_44:                              ;   in Loop: Header=BB12_17 Depth=3
	v_ashrrev_i32_e32 v6, 31, v5
	s_delay_alu instid0(VALU_DEP_1) | instskip(NEXT) | instid1(VALU_DEP_1)
	v_lshlrev_b64 v[5:6], 1, v[5:6]
	v_add_co_u32 v5, vcc_lo, s18, v5
	s_delay_alu instid0(VALU_DEP_2)
	v_add_co_ci_u32_e32 v6, vcc_lo, s19, v6, vcc_lo
	global_load_u16 v5, v[5:6], off
	s_waitcnt vmcnt(0)
	v_cvt_f32_f16_e32 v6, v5
	s_branch .LBB12_16
.LBB12_45:                              ;   in Loop: Header=BB12_12 Depth=1
	v_cmp_gt_i32_e32 vcc_lo, s6, v3
	s_and_b32 s2, s8, vcc_lo
	s_delay_alu instid0(SALU_CYCLE_1)
	s_and_saveexec_b32 s1, s2
	s_cbranch_execz .LBB12_11
; %bb.46:                               ;   in Loop: Header=BB12_12 Depth=1
	v_add_nc_u32_e32 v3, s7, v3
	s_and_b32 vcc_lo, exec_lo, s9
	s_delay_alu instid0(VALU_DEP_1)
	v_ashrrev_i32_e32 v4, 31, v3
	s_cbranch_vccz .LBB12_52
; %bb.47:                               ;   in Loop: Header=BB12_12 Depth=1
	s_and_b32 vcc_lo, exec_lo, s4
	s_mov_b32 s2, -1
	s_cbranch_vccz .LBB12_49
; %bb.48:                               ;   in Loop: Header=BB12_12 Depth=1
	v_mul_lo_u32 v20, v4, s22
	v_mul_lo_u32 v21, v3, s23
	v_mad_u64_u32 v[5:6], null, v3, s22, 0
	s_mov_b32 s2, 0
	s_delay_alu instid0(VALU_DEP_1) | instskip(SKIP_1) | instid1(VALU_DEP_2)
	v_add3_u32 v6, v6, v21, v20
	v_mul_f32_e32 v21, s12, v19
	v_lshlrev_b64 v[5:6], 2, v[5:6]
	s_delay_alu instid0(VALU_DEP_1) | instskip(NEXT) | instid1(VALU_DEP_2)
	v_add_co_u32 v5, vcc_lo, v13, v5
	v_add_co_ci_u32_e32 v6, vcc_lo, v14, v6, vcc_lo
	global_load_b32 v20, v[5:6], off
	s_waitcnt vmcnt(0)
	v_fmac_f32_e32 v21, s28, v20
	global_store_b32 v[5:6], v21, off
.LBB12_49:                              ;   in Loop: Header=BB12_12 Depth=1
	s_and_not1_b32 vcc_lo, exec_lo, s2
	s_cbranch_vccnz .LBB12_51
; %bb.50:                               ;   in Loop: Header=BB12_12 Depth=1
	v_lshlrev_b64 v[5:6], 2, v[3:4]
	v_mul_f32_e32 v21, s12, v19
	s_delay_alu instid0(VALU_DEP_2) | instskip(NEXT) | instid1(VALU_DEP_3)
	v_add_co_u32 v5, vcc_lo, v15, v5
	v_add_co_ci_u32_e32 v6, vcc_lo, v16, v6, vcc_lo
	global_load_b32 v20, v[5:6], off
	s_waitcnt vmcnt(0)
	v_fmac_f32_e32 v21, s28, v20
	global_store_b32 v[5:6], v21, off
.LBB12_51:                              ;   in Loop: Header=BB12_12 Depth=1
	s_cbranch_execnz .LBB12_11
	s_branch .LBB12_53
.LBB12_52:                              ;   in Loop: Header=BB12_12 Depth=1
.LBB12_53:                              ;   in Loop: Header=BB12_12 Depth=1
	v_mul_f32_e32 v5, s12, v19
	s_and_b32 vcc_lo, exec_lo, s4
	s_mov_b32 s2, -1
	s_cbranch_vccz .LBB12_55
; %bb.54:                               ;   in Loop: Header=BB12_12 Depth=1
	v_mul_lo_u32 v6, v4, s22
	v_mul_lo_u32 v21, v3, s23
	v_mad_u64_u32 v[19:20], null, v3, s22, 0
	s_mov_b32 s2, 0
	s_delay_alu instid0(VALU_DEP_1) | instskip(NEXT) | instid1(VALU_DEP_1)
	v_add3_u32 v20, v20, v21, v6
	v_lshlrev_b64 v[19:20], 2, v[19:20]
	s_delay_alu instid0(VALU_DEP_1) | instskip(NEXT) | instid1(VALU_DEP_2)
	v_add_co_u32 v19, vcc_lo, v13, v19
	v_add_co_ci_u32_e32 v20, vcc_lo, v14, v20, vcc_lo
	global_store_b32 v[19:20], v5, off
.LBB12_55:                              ;   in Loop: Header=BB12_12 Depth=1
	s_and_not1_b32 vcc_lo, exec_lo, s2
	s_cbranch_vccnz .LBB12_11
; %bb.56:                               ;   in Loop: Header=BB12_12 Depth=1
	v_lshlrev_b64 v[3:4], 2, v[3:4]
	s_delay_alu instid0(VALU_DEP_1) | instskip(NEXT) | instid1(VALU_DEP_2)
	v_add_co_u32 v3, vcc_lo, v15, v3
	v_add_co_ci_u32_e32 v4, vcc_lo, v16, v4, vcc_lo
	global_store_b32 v[3:4], v5, off
	s_branch .LBB12_11
.LBB12_57:
	s_nop 0
	s_sendmsg sendmsg(MSG_DEALLOC_VGPRS)
	s_endpgm
	.section	.rodata,"a",@progbits
	.p2align	6, 0x0
	.amdhsa_kernel _ZN9rocsparseL29bsrmm_general_blockdim_kernelILj32ELj32EiiDF16_DF16_ffEEvb20rocsparse_direction_T2_S2_llNS_24const_host_device_scalarIT6_EEPKT1_PKS2_PKT3_S2_PKT4_llS5_PT5_ll16rocsparse_order_21rocsparse_index_base_b
		.amdhsa_group_segment_fixed_size 8192
		.amdhsa_private_segment_fixed_size 0
		.amdhsa_kernarg_size 140
		.amdhsa_user_sgpr_count 14
		.amdhsa_user_sgpr_dispatch_ptr 0
		.amdhsa_user_sgpr_queue_ptr 0
		.amdhsa_user_sgpr_kernarg_segment_ptr 1
		.amdhsa_user_sgpr_dispatch_id 0
		.amdhsa_user_sgpr_private_segment_size 0
		.amdhsa_wavefront_size32 1
		.amdhsa_uses_dynamic_stack 0
		.amdhsa_enable_private_segment 0
		.amdhsa_system_sgpr_workgroup_id_x 1
		.amdhsa_system_sgpr_workgroup_id_y 1
		.amdhsa_system_sgpr_workgroup_id_z 0
		.amdhsa_system_sgpr_workgroup_info 0
		.amdhsa_system_vgpr_workitem_id 1
		.amdhsa_next_free_vgpr 34
		.amdhsa_next_free_sgpr 34
		.amdhsa_reserve_vcc 1
		.amdhsa_float_round_mode_32 0
		.amdhsa_float_round_mode_16_64 0
		.amdhsa_float_denorm_mode_32 3
		.amdhsa_float_denorm_mode_16_64 3
		.amdhsa_dx10_clamp 1
		.amdhsa_ieee_mode 1
		.amdhsa_fp16_overflow 0
		.amdhsa_workgroup_processor_mode 1
		.amdhsa_memory_ordered 1
		.amdhsa_forward_progress 0
		.amdhsa_shared_vgpr_count 0
		.amdhsa_exception_fp_ieee_invalid_op 0
		.amdhsa_exception_fp_denorm_src 0
		.amdhsa_exception_fp_ieee_div_zero 0
		.amdhsa_exception_fp_ieee_overflow 0
		.amdhsa_exception_fp_ieee_underflow 0
		.amdhsa_exception_fp_ieee_inexact 0
		.amdhsa_exception_int_div_zero 0
	.end_amdhsa_kernel
	.section	.text._ZN9rocsparseL29bsrmm_general_blockdim_kernelILj32ELj32EiiDF16_DF16_ffEEvb20rocsparse_direction_T2_S2_llNS_24const_host_device_scalarIT6_EEPKT1_PKS2_PKT3_S2_PKT4_llS5_PT5_ll16rocsparse_order_21rocsparse_index_base_b,"axG",@progbits,_ZN9rocsparseL29bsrmm_general_blockdim_kernelILj32ELj32EiiDF16_DF16_ffEEvb20rocsparse_direction_T2_S2_llNS_24const_host_device_scalarIT6_EEPKT1_PKS2_PKT3_S2_PKT4_llS5_PT5_ll16rocsparse_order_21rocsparse_index_base_b,comdat
.Lfunc_end12:
	.size	_ZN9rocsparseL29bsrmm_general_blockdim_kernelILj32ELj32EiiDF16_DF16_ffEEvb20rocsparse_direction_T2_S2_llNS_24const_host_device_scalarIT6_EEPKT1_PKS2_PKT3_S2_PKT4_llS5_PT5_ll16rocsparse_order_21rocsparse_index_base_b, .Lfunc_end12-_ZN9rocsparseL29bsrmm_general_blockdim_kernelILj32ELj32EiiDF16_DF16_ffEEvb20rocsparse_direction_T2_S2_llNS_24const_host_device_scalarIT6_EEPKT1_PKS2_PKT3_S2_PKT4_llS5_PT5_ll16rocsparse_order_21rocsparse_index_base_b
                                        ; -- End function
	.section	.AMDGPU.csdata,"",@progbits
; Kernel info:
; codeLenInByte = 2232
; NumSgprs: 36
; NumVgprs: 34
; ScratchSize: 0
; MemoryBound: 0
; FloatMode: 240
; IeeeMode: 1
; LDSByteSize: 8192 bytes/workgroup (compile time only)
; SGPRBlocks: 4
; VGPRBlocks: 4
; NumSGPRsForWavesPerEU: 36
; NumVGPRsForWavesPerEU: 34
; Occupancy: 16
; WaveLimiterHint : 0
; COMPUTE_PGM_RSRC2:SCRATCH_EN: 0
; COMPUTE_PGM_RSRC2:USER_SGPR: 14
; COMPUTE_PGM_RSRC2:TRAP_HANDLER: 0
; COMPUTE_PGM_RSRC2:TGID_X_EN: 1
; COMPUTE_PGM_RSRC2:TGID_Y_EN: 1
; COMPUTE_PGM_RSRC2:TGID_Z_EN: 0
; COMPUTE_PGM_RSRC2:TIDIG_COMP_CNT: 1
	.section	.text._ZN9rocsparseL29bsrmm_general_blockdim_kernelILj32ELj32EliDF16_DF16_ffEEvb20rocsparse_direction_T2_S2_llNS_24const_host_device_scalarIT6_EEPKT1_PKS2_PKT3_S2_PKT4_llS5_PT5_ll16rocsparse_order_21rocsparse_index_base_b,"axG",@progbits,_ZN9rocsparseL29bsrmm_general_blockdim_kernelILj32ELj32EliDF16_DF16_ffEEvb20rocsparse_direction_T2_S2_llNS_24const_host_device_scalarIT6_EEPKT1_PKS2_PKT3_S2_PKT4_llS5_PT5_ll16rocsparse_order_21rocsparse_index_base_b,comdat
	.globl	_ZN9rocsparseL29bsrmm_general_blockdim_kernelILj32ELj32EliDF16_DF16_ffEEvb20rocsparse_direction_T2_S2_llNS_24const_host_device_scalarIT6_EEPKT1_PKS2_PKT3_S2_PKT4_llS5_PT5_ll16rocsparse_order_21rocsparse_index_base_b ; -- Begin function _ZN9rocsparseL29bsrmm_general_blockdim_kernelILj32ELj32EliDF16_DF16_ffEEvb20rocsparse_direction_T2_S2_llNS_24const_host_device_scalarIT6_EEPKT1_PKS2_PKT3_S2_PKT4_llS5_PT5_ll16rocsparse_order_21rocsparse_index_base_b
	.p2align	8
	.type	_ZN9rocsparseL29bsrmm_general_blockdim_kernelILj32ELj32EliDF16_DF16_ffEEvb20rocsparse_direction_T2_S2_llNS_24const_host_device_scalarIT6_EEPKT1_PKS2_PKT3_S2_PKT4_llS5_PT5_ll16rocsparse_order_21rocsparse_index_base_b,@function
_ZN9rocsparseL29bsrmm_general_blockdim_kernelILj32ELj32EliDF16_DF16_ffEEvb20rocsparse_direction_T2_S2_llNS_24const_host_device_scalarIT6_EEPKT1_PKS2_PKT3_S2_PKT4_llS5_PT5_ll16rocsparse_order_21rocsparse_index_base_b: ; @_ZN9rocsparseL29bsrmm_general_blockdim_kernelILj32ELj32EliDF16_DF16_ffEEvb20rocsparse_direction_T2_S2_llNS_24const_host_device_scalarIT6_EEPKT1_PKS2_PKT3_S2_PKT4_llS5_PT5_ll16rocsparse_order_21rocsparse_index_base_b
; %bb.0:
	s_clause 0x2
	s_load_b128 s[4:7], s[0:1], 0x80
	s_load_b64 s[12:13], s[0:1], 0x20
	s_load_b64 s[28:29], s[0:1], 0x60
	s_mov_b32 s2, s15
	s_waitcnt lgkmcnt(0)
	s_bitcmp1_b32 s6, 0
	s_cselect_b32 s3, -1, 0
	s_delay_alu instid0(SALU_CYCLE_1)
	s_and_b32 vcc_lo, exec_lo, s3
	s_xor_b32 s3, s3, -1
	s_cbranch_vccnz .LBB13_2
; %bb.1:
	s_load_b32 s12, s[12:13], 0x0
.LBB13_2:
	s_and_not1_b32 vcc_lo, exec_lo, s3
	s_cbranch_vccnz .LBB13_4
; %bb.3:
	s_load_b32 s28, s[28:29], 0x0
.LBB13_4:
	s_waitcnt lgkmcnt(0)
	v_cmp_eq_f32_e64 s3, s12, 0
	v_cmp_eq_f32_e64 s6, s28, 1.0
	s_delay_alu instid0(VALU_DEP_1) | instskip(NEXT) | instid1(SALU_CYCLE_1)
	s_and_b32 s3, s3, s6
	s_and_b32 vcc_lo, exec_lo, s3
	s_cbranch_vccnz .LBB13_53
; %bb.5:
	s_clause 0x1
	s_load_b128 s[24:27], s[0:1], 0x0
	s_load_b64 s[8:9], s[0:1], 0x28
	s_mov_b64 s[6:7], 0
	s_mov_b64 s[30:31], 0
	s_waitcnt lgkmcnt(0)
	s_cmp_lt_i32 s14, s26
	s_cselect_b32 s3, -1, 0
	s_cmp_ge_i32 s14, s26
	s_cbranch_scc0 .LBB13_8
; %bb.6:
	s_and_not1_b32 vcc_lo, exec_lo, s3
	s_cbranch_vccz .LBB13_9
.LBB13_7:
	s_load_b32 s13, s[0:1], 0x40
	s_waitcnt lgkmcnt(0)
	s_cmp_lt_i32 s13, 1
	s_cbranch_scc0 .LBB13_10
	s_branch .LBB13_53
.LBB13_8:
	s_ashr_i32 s15, s14, 31
	s_delay_alu instid0(SALU_CYCLE_1) | instskip(NEXT) | instid1(SALU_CYCLE_1)
	s_lshl_b64 s[10:11], s[14:15], 3
	s_add_u32 s10, s8, s10
	s_addc_u32 s11, s9, s11
	s_load_b64 s[10:11], s[10:11], 0x0
	s_waitcnt lgkmcnt(0)
	s_sub_u32 s30, s10, s5
	s_subb_u32 s31, s11, 0
	s_and_not1_b32 vcc_lo, exec_lo, s3
	s_cbranch_vccnz .LBB13_7
.LBB13_9:
	s_ashr_i32 s15, s14, 31
	s_delay_alu instid0(SALU_CYCLE_1) | instskip(NEXT) | instid1(SALU_CYCLE_1)
	s_lshl_b64 s[6:7], s[14:15], 3
	s_add_u32 s6, s8, s6
	s_addc_u32 s7, s9, s7
	s_load_b64 s[6:7], s[6:7], 0x8
	s_waitcnt lgkmcnt(0)
	s_sub_u32 s6, s6, s5
	s_subb_u32 s7, s7, 0
	s_load_b32 s13, s[0:1], 0x40
	s_waitcnt lgkmcnt(0)
	s_cmp_lt_i32 s13, 1
	s_cbranch_scc1 .LBB13_53
.LBB13_10:
	s_load_b128 s[8:11], s[0:1], 0x48
	v_bfe_u32 v6, v0, 10, 10
	s_clause 0x1
	s_load_b128 s[16:19], s[0:1], 0x30
	s_load_b128 s[20:23], s[0:1], 0x68
	v_and_b32_e32 v0, 0x3ff, v0
	s_bitcmp1_b32 s24, 0
	s_mul_i32 s14, s14, s13
	v_lshl_add_u32 v1, s2, 5, v6
	v_lshlrev_b32_e32 v3, 5, v6
	s_cselect_b32 s0, -1, 0
	v_lshlrev_b32_e32 v17, 2, v0
	s_xor_b32 s15, s0, -1
	v_ashrrev_i32_e32 v2, 31, v1
	v_add_lshl_u32 v7, v3, v0, 2
	v_cmp_gt_i32_e64 s0, s27, v1
	s_cmp_lg_u32 s25, 0
	v_lshl_add_u32 v18, v6, 7, 0x1000
	v_lshlrev_b64 v[9:10], 1, v[1:2]
	s_cselect_b32 s25, -1, 0
	v_add_nc_u32_e32 v8, 0x1000, v7
	s_and_b32 s26, s3, s0
	s_waitcnt lgkmcnt(0)
	v_mul_lo_u32 v5, v2, s10
	v_mul_lo_u32 v11, v1, s11
	v_mad_u64_u32 v[3:4], null, v1, s10, 0
	v_mul_lo_u32 v12, v2, s22
	v_mul_lo_u32 v15, v1, s23
	v_mad_u64_u32 v[13:14], null, v1, s22, 0
	v_add_co_u32 v9, vcc_lo, s8, v9
	v_add3_u32 v4, v4, v11, v5
	v_lshlrev_b64 v[1:2], 2, v[1:2]
	v_add_co_ci_u32_e32 v10, vcc_lo, s9, v10, vcc_lo
	v_add3_u32 v14, v14, v15, v12
	s_delay_alu instid0(VALU_DEP_4) | instskip(SKIP_3) | instid1(VALU_DEP_1)
	v_lshlrev_b64 v[3:4], 1, v[3:4]
	s_cmp_lg_u32 s4, 1
	s_mov_b32 s24, 0
	s_mul_i32 s4, s13, s13
	v_add_co_u32 v11, vcc_lo, s8, v3
	s_delay_alu instid0(VALU_DEP_2) | instskip(SKIP_4) | instid1(VALU_DEP_4)
	v_add_co_ci_u32_e32 v12, vcc_lo, s9, v4, vcc_lo
	v_lshlrev_b64 v[3:4], 2, v[13:14]
	v_add_co_u32 v13, vcc_lo, s20, v1
	v_add_co_ci_u32_e32 v14, vcc_lo, s21, v2, vcc_lo
	v_cmp_lt_i64_e64 s9, s[30:31], s[6:7]
	v_add_co_u32 v15, vcc_lo, s20, v3
	v_cmp_neq_f32_e64 s8, s28, 0
	v_add_co_ci_u32_e32 v16, vcc_lo, s21, v4, vcc_lo
	s_cselect_b32 s20, -1, 0
	s_branch .LBB13_12
.LBB13_11:                              ;   in Loop: Header=BB13_12 Depth=1
	s_or_b32 exec_lo, exec_lo, s1
	s_add_i32 s24, s24, 32
	s_delay_alu instid0(SALU_CYCLE_1)
	s_cmp_lt_i32 s24, s13
	s_cbranch_scc0 .LBB13_53
.LBB13_12:                              ; =>This Loop Header: Depth=1
                                        ;     Child Loop BB13_15 Depth 2
                                        ;       Child Loop BB13_17 Depth 3
	v_dual_mov_b32 v19, 0 :: v_dual_add_nc_u32 v20, s24, v0
	s_and_not1_b32 vcc_lo, exec_lo, s9
	s_delay_alu instid0(VALU_DEP_1)
	v_cmp_gt_i32_e64 s1, s13, v20
	s_cbranch_vccnz .LBB13_41
; %bb.13:                               ;   in Loop: Header=BB13_12 Depth=1
	v_mul_lo_u32 v21, v20, s13
	v_mov_b32_e32 v19, 0
	s_mov_b64 s[2:3], s[30:31]
	s_branch .LBB13_15
.LBB13_14:                              ;   in Loop: Header=BB13_15 Depth=2
	s_add_u32 s2, s2, 1
	s_addc_u32 s3, s3, 0
	s_delay_alu instid0(SALU_CYCLE_1) | instskip(NEXT) | instid1(VALU_DEP_1)
	v_cmp_ge_i64_e64 s21, s[2:3], s[6:7]
	s_and_b32 vcc_lo, exec_lo, s21
	s_cbranch_vccnz .LBB13_41
.LBB13_15:                              ;   Parent Loop BB13_12 Depth=1
                                        ; =>  This Loop Header: Depth=2
                                        ;       Child Loop BB13_17 Depth 3
	s_lshl_b64 s[34:35], s[2:3], 2
	s_mul_i32 s27, s3, s4
	s_add_u32 s34, s16, s34
	s_addc_u32 s35, s17, s35
	s_mul_hi_u32 s29, s2, s4
	s_load_b32 s21, s[34:35], 0x0
	s_add_i32 s35, s29, s27
	s_mul_i32 s34, s2, s4
	s_mov_b32 s29, 0
	s_lshl_b64 s[34:35], s[34:35], 1
	s_waitcnt lgkmcnt(0)
	s_sub_i32 s21, s21, s5
	s_delay_alu instid0(SALU_CYCLE_1)
	v_mad_u64_u32 v[1:2], null, s21, s13, v[0:1]
	s_add_u32 s21, s18, s34
	s_addc_u32 s27, s19, s35
	s_branch .LBB13_17
.LBB13_16:                              ;   in Loop: Header=BB13_17 Depth=3
	s_or_b32 exec_lo, exec_lo, s33
	ds_store_b32 v7, v3
	s_waitcnt lgkmcnt(0)
	s_waitcnt_vscnt null, 0x0
	s_barrier
	buffer_gl0_inv
	ds_load_2addr_b32 v[26:27], v17 offset1:32
	ds_load_b128 v[2:5], v18
	ds_load_2addr_b32 v[28:29], v17 offset0:64 offset1:96
	ds_load_b128 v[22:25], v18 offset:16
	ds_load_2addr_b32 v[30:31], v17 offset0:128 offset1:160
	s_add_i32 s29, s29, 32
	v_add_nc_u32_e32 v32, 0x400, v17
	s_cmp_ge_i32 s29, s13
	s_waitcnt lgkmcnt(3)
	v_fmac_f32_e32 v19, v26, v2
	s_delay_alu instid0(VALU_DEP_1) | instskip(SKIP_3) | instid1(VALU_DEP_1)
	v_fmac_f32_e32 v19, v27, v3
	ds_load_2addr_b32 v[26:27], v17 offset0:192 offset1:224
	s_waitcnt lgkmcnt(3)
	v_fmac_f32_e32 v19, v28, v4
	v_fmac_f32_e32 v19, v29, v5
	ds_load_2addr_b32 v[28:29], v32 offset1:32
	ds_load_b128 v[2:5], v18 offset:32
	s_waitcnt lgkmcnt(3)
	v_fmac_f32_e32 v19, v30, v22
	s_delay_alu instid0(VALU_DEP_1) | instskip(SKIP_3) | instid1(VALU_DEP_1)
	v_fmac_f32_e32 v19, v31, v23
	ds_load_2addr_b32 v[30:31], v32 offset0:64 offset1:96
	s_waitcnt lgkmcnt(3)
	v_fmac_f32_e32 v19, v26, v24
	v_fmac_f32_e32 v19, v27, v25
	ds_load_b128 v[22:25], v18 offset:48
	ds_load_2addr_b32 v[26:27], v32 offset0:128 offset1:160
	s_waitcnt lgkmcnt(3)
	v_fmac_f32_e32 v19, v28, v2
	s_delay_alu instid0(VALU_DEP_1) | instskip(SKIP_3) | instid1(VALU_DEP_1)
	v_fmac_f32_e32 v19, v29, v3
	ds_load_2addr_b32 v[28:29], v32 offset0:192 offset1:224
	s_waitcnt lgkmcnt(3)
	v_dual_fmac_f32 v19, v30, v4 :: v_dual_add_nc_u32 v32, 0x800, v17
	v_fmac_f32_e32 v19, v31, v5
	ds_load_2addr_b32 v[30:31], v32 offset1:32
	ds_load_b128 v[2:5], v18 offset:64
	s_waitcnt lgkmcnt(3)
	v_fmac_f32_e32 v19, v26, v22
	s_delay_alu instid0(VALU_DEP_1) | instskip(SKIP_3) | instid1(VALU_DEP_1)
	v_fmac_f32_e32 v19, v27, v23
	ds_load_2addr_b32 v[26:27], v32 offset0:64 offset1:96
	s_waitcnt lgkmcnt(3)
	v_fmac_f32_e32 v19, v28, v24
	v_fmac_f32_e32 v19, v29, v25
	ds_load_b128 v[22:25], v18 offset:80
	ds_load_2addr_b32 v[28:29], v32 offset0:128 offset1:160
	s_waitcnt lgkmcnt(3)
	v_fmac_f32_e32 v19, v30, v2
	s_delay_alu instid0(VALU_DEP_1) | instskip(SKIP_3) | instid1(VALU_DEP_1)
	v_fmac_f32_e32 v19, v31, v3
	ds_load_2addr_b32 v[30:31], v32 offset0:192 offset1:224
	s_waitcnt lgkmcnt(3)
	v_dual_fmac_f32 v19, v26, v4 :: v_dual_add_nc_u32 v32, 0xc00, v17
	v_fmac_f32_e32 v19, v27, v5
	ds_load_2addr_b32 v[26:27], v32 offset1:32
	ds_load_b128 v[2:5], v18 offset:96
	s_waitcnt lgkmcnt(3)
	v_fmac_f32_e32 v19, v28, v22
	s_delay_alu instid0(VALU_DEP_1) | instskip(SKIP_3) | instid1(VALU_DEP_1)
	v_fmac_f32_e32 v19, v29, v23
	ds_load_2addr_b32 v[28:29], v32 offset0:64 offset1:96
	s_waitcnt lgkmcnt(3)
	v_fmac_f32_e32 v19, v30, v24
	v_fmac_f32_e32 v19, v31, v25
	ds_load_b128 v[22:25], v18 offset:112
	ds_load_2addr_b32 v[30:31], v32 offset0:128 offset1:160
	s_waitcnt lgkmcnt(3)
	v_fmac_f32_e32 v19, v26, v2
	s_delay_alu instid0(VALU_DEP_1)
	v_fmac_f32_e32 v19, v27, v3
	ds_load_2addr_b32 v[2:3], v32 offset0:192 offset1:224
	s_waitcnt lgkmcnt(0)
	s_barrier
	buffer_gl0_inv
	v_fmac_f32_e32 v19, v28, v4
	s_delay_alu instid0(VALU_DEP_1) | instskip(NEXT) | instid1(VALU_DEP_1)
	v_fmac_f32_e32 v19, v29, v5
	v_fmac_f32_e32 v19, v30, v22
	s_delay_alu instid0(VALU_DEP_1) | instskip(NEXT) | instid1(VALU_DEP_1)
	v_fmac_f32_e32 v19, v31, v23
	v_fmac_f32_e32 v19, v2, v24
	s_delay_alu instid0(VALU_DEP_1)
	v_fmac_f32_e32 v19, v3, v25
	s_cbranch_scc1 .LBB13_14
.LBB13_17:                              ;   Parent Loop BB13_12 Depth=1
                                        ;     Parent Loop BB13_15 Depth=2
                                        ; =>    This Inner Loop Header: Depth=3
	s_and_b32 vcc_lo, exec_lo, s15
	s_cbranch_vccz .LBB13_23
; %bb.18:                               ;   in Loop: Header=BB13_17 Depth=3
	s_mov_b32 s34, 0
	s_mov_b32 s33, 0
                                        ; implicit-def: $vgpr2_vgpr3
	s_and_saveexec_b32 s35, s0
	s_cbranch_execz .LBB13_22
; %bb.19:                               ;   in Loop: Header=BB13_17 Depth=3
	v_add_nc_u32_e32 v2, s29, v0
	s_delay_alu instid0(VALU_DEP_1) | instskip(SKIP_1) | instid1(SALU_CYCLE_1)
	v_cmp_gt_i32_e32 vcc_lo, s13, v2
                                        ; implicit-def: $vgpr2_vgpr3
	s_and_saveexec_b32 s36, vcc_lo
	s_xor_b32 s36, exec_lo, s36
; %bb.20:                               ;   in Loop: Header=BB13_17 Depth=3
	v_add_nc_u32_e32 v4, s29, v1
	s_mov_b32 s33, exec_lo
	s_delay_alu instid0(VALU_DEP_1) | instskip(SKIP_2) | instid1(VALU_DEP_3)
	v_ashrrev_i32_e32 v5, 31, v4
	v_mul_lo_u32 v22, v4, s11
	v_mad_u64_u32 v[2:3], null, v4, s10, 0
	v_mul_lo_u32 v4, v5, s10
	s_delay_alu instid0(VALU_DEP_1) | instskip(NEXT) | instid1(VALU_DEP_1)
	v_add3_u32 v3, v3, v22, v4
	v_lshlrev_b64 v[2:3], 1, v[2:3]
	s_delay_alu instid0(VALU_DEP_1) | instskip(NEXT) | instid1(VALU_DEP_2)
	v_add_co_u32 v2, vcc_lo, v9, v2
	v_add_co_ci_u32_e32 v3, vcc_lo, v10, v3, vcc_lo
; %bb.21:                               ;   in Loop: Header=BB13_17 Depth=3
	s_or_b32 exec_lo, exec_lo, s36
	s_delay_alu instid0(SALU_CYCLE_1)
	s_and_b32 s33, s33, exec_lo
.LBB13_22:                              ;   in Loop: Header=BB13_17 Depth=3
	s_or_b32 exec_lo, exec_lo, s35
	s_delay_alu instid0(SALU_CYCLE_1)
	s_and_b32 vcc_lo, exec_lo, s34
	s_cbranch_vccnz .LBB13_24
	s_branch .LBB13_29
.LBB13_23:                              ;   in Loop: Header=BB13_17 Depth=3
	s_mov_b32 s34, -1
	s_mov_b32 s33, 0
                                        ; implicit-def: $vgpr2_vgpr3
	s_cbranch_execz .LBB13_29
.LBB13_24:                              ;   in Loop: Header=BB13_17 Depth=3
                                        ; implicit-def: $vgpr2_vgpr3
	s_and_saveexec_b32 s34, s0
	s_cbranch_execz .LBB13_28
; %bb.25:                               ;   in Loop: Header=BB13_17 Depth=3
	v_add_nc_u32_e32 v2, s29, v0
	s_mov_b32 s36, s33
	s_delay_alu instid0(VALU_DEP_1)
	v_cmp_gt_i32_e32 vcc_lo, s13, v2
                                        ; implicit-def: $vgpr2_vgpr3
	s_and_saveexec_b32 s35, vcc_lo
; %bb.26:                               ;   in Loop: Header=BB13_17 Depth=3
	v_add_nc_u32_e32 v2, s29, v1
	s_or_b32 s36, s33, exec_lo
	s_delay_alu instid0(VALU_DEP_1) | instskip(NEXT) | instid1(VALU_DEP_1)
	v_ashrrev_i32_e32 v3, 31, v2
	v_lshlrev_b64 v[2:3], 1, v[2:3]
	s_delay_alu instid0(VALU_DEP_1) | instskip(NEXT) | instid1(VALU_DEP_2)
	v_add_co_u32 v2, vcc_lo, v11, v2
	v_add_co_ci_u32_e32 v3, vcc_lo, v12, v3, vcc_lo
; %bb.27:                               ;   in Loop: Header=BB13_17 Depth=3
	s_or_b32 exec_lo, exec_lo, s35
	s_delay_alu instid0(SALU_CYCLE_1) | instskip(SKIP_1) | instid1(SALU_CYCLE_1)
	s_and_not1_b32 s33, s33, exec_lo
	s_and_b32 s35, s36, exec_lo
	s_or_b32 s33, s33, s35
.LBB13_28:                              ;   in Loop: Header=BB13_17 Depth=3
	s_or_b32 exec_lo, exec_lo, s34
	s_mov_b32 s34, 0
.LBB13_29:                              ;   in Loop: Header=BB13_17 Depth=3
	s_delay_alu instid0(SALU_CYCLE_1)
	v_mov_b32_e32 v4, s34
	s_and_saveexec_b32 s34, s33
	s_cbranch_execnz .LBB13_39
; %bb.30:                               ;   in Loop: Header=BB13_17 Depth=3
	s_or_b32 exec_lo, exec_lo, s34
	s_delay_alu instid0(SALU_CYCLE_1)
	s_and_b32 vcc_lo, exec_lo, s25
	ds_store_b32 v8, v4
	s_cbranch_vccz .LBB13_40
.LBB13_31:                              ;   in Loop: Header=BB13_17 Depth=3
	s_mov_b32 s33, 0
	s_mov_b32 s34, 0
                                        ; implicit-def: $vgpr2
	s_and_saveexec_b32 s35, s1
	s_cbranch_execz .LBB13_35
; %bb.32:                               ;   in Loop: Header=BB13_17 Depth=3
	v_add_nc_u32_e32 v3, s29, v6
	s_mov_b32 s36, exec_lo
                                        ; implicit-def: $vgpr2
	s_delay_alu instid0(VALU_DEP_1)
	v_cmpx_gt_i32_e64 s13, v3
	s_xor_b32 s36, exec_lo, s36
; %bb.33:                               ;   in Loop: Header=BB13_17 Depth=3
	s_mov_b32 s34, exec_lo
	v_mul_lo_u32 v2, v3, s13
; %bb.34:                               ;   in Loop: Header=BB13_17 Depth=3
	s_or_b32 exec_lo, exec_lo, s36
	s_delay_alu instid0(SALU_CYCLE_1)
	s_and_b32 s34, s34, exec_lo
.LBB13_35:                              ;   in Loop: Header=BB13_17 Depth=3
	s_or_b32 exec_lo, exec_lo, s35
	v_mov_b32_e32 v4, v20
	s_and_b32 vcc_lo, exec_lo, s33
	s_cbranch_vccz .LBB13_37
.LBB13_36:                              ;   in Loop: Header=BB13_17 Depth=3
	v_add_nc_u32_e32 v2, s29, v6
	v_mov_b32_e32 v4, v21
	s_and_not1_b32 s34, s34, exec_lo
	s_delay_alu instid0(VALU_DEP_2) | instskip(SKIP_1) | instid1(SALU_CYCLE_1)
	v_cmp_gt_i32_e32 vcc_lo, s13, v2
	s_and_b32 s33, s1, vcc_lo
	s_and_b32 s35, s33, exec_lo
	s_mov_b32 s33, 0
	s_or_b32 s34, s34, s35
.LBB13_37:                              ;   in Loop: Header=BB13_17 Depth=3
	v_mov_b32_e32 v3, s33
	s_and_saveexec_b32 s33, s34
	s_cbranch_execz .LBB13_16
; %bb.38:                               ;   in Loop: Header=BB13_17 Depth=3
	v_ashrrev_i32_e32 v5, 31, v4
	v_ashrrev_i32_e32 v3, 31, v2
	s_delay_alu instid0(VALU_DEP_2) | instskip(NEXT) | instid1(VALU_DEP_2)
	v_lshlrev_b64 v[4:5], 1, v[4:5]
	v_lshlrev_b64 v[2:3], 1, v[2:3]
	s_delay_alu instid0(VALU_DEP_2) | instskip(NEXT) | instid1(VALU_DEP_3)
	v_add_co_u32 v4, vcc_lo, s21, v4
	v_add_co_ci_u32_e32 v5, vcc_lo, s27, v5, vcc_lo
	s_delay_alu instid0(VALU_DEP_2) | instskip(NEXT) | instid1(VALU_DEP_2)
	v_add_co_u32 v2, vcc_lo, v4, v2
	v_add_co_ci_u32_e32 v3, vcc_lo, v5, v3, vcc_lo
	global_load_u16 v2, v[2:3], off
	s_waitcnt vmcnt(0)
	v_cvt_f32_f16_e32 v3, v2
	s_branch .LBB13_16
.LBB13_39:                              ;   in Loop: Header=BB13_17 Depth=3
	global_load_u16 v2, v[2:3], off
	s_waitcnt vmcnt(0)
	v_cvt_f32_f16_e32 v4, v2
	s_or_b32 exec_lo, exec_lo, s34
	s_delay_alu instid0(SALU_CYCLE_1)
	s_and_b32 vcc_lo, exec_lo, s25
	ds_store_b32 v8, v4
	s_cbranch_vccnz .LBB13_31
.LBB13_40:                              ;   in Loop: Header=BB13_17 Depth=3
	s_mov_b32 s33, -1
	s_mov_b32 s34, 0
                                        ; implicit-def: $vgpr4
                                        ; implicit-def: $vgpr2
	s_cbranch_execnz .LBB13_36
	s_branch .LBB13_37
.LBB13_41:                              ;   in Loop: Header=BB13_12 Depth=1
	v_cmp_gt_i32_e32 vcc_lo, s13, v20
	s_and_b32 s2, s26, vcc_lo
	s_delay_alu instid0(SALU_CYCLE_1)
	s_and_saveexec_b32 s1, s2
	s_cbranch_execz .LBB13_11
; %bb.42:                               ;   in Loop: Header=BB13_12 Depth=1
	v_add_nc_u32_e32 v1, s14, v20
	s_and_b32 vcc_lo, exec_lo, s8
	s_delay_alu instid0(VALU_DEP_1)
	v_ashrrev_i32_e32 v2, 31, v1
	s_cbranch_vccz .LBB13_48
; %bb.43:                               ;   in Loop: Header=BB13_12 Depth=1
	s_and_b32 vcc_lo, exec_lo, s20
	s_mov_b32 s2, -1
	s_cbranch_vccz .LBB13_45
; %bb.44:                               ;   in Loop: Header=BB13_12 Depth=1
	v_mul_lo_u32 v5, v2, s22
	v_mul_lo_u32 v20, v1, s23
	v_mad_u64_u32 v[3:4], null, v1, s22, 0
	s_mov_b32 s2, 0
	s_delay_alu instid0(VALU_DEP_1) | instskip(SKIP_1) | instid1(VALU_DEP_2)
	v_add3_u32 v4, v4, v20, v5
	v_mul_f32_e32 v20, s12, v19
	v_lshlrev_b64 v[3:4], 2, v[3:4]
	s_delay_alu instid0(VALU_DEP_1) | instskip(NEXT) | instid1(VALU_DEP_2)
	v_add_co_u32 v3, vcc_lo, v13, v3
	v_add_co_ci_u32_e32 v4, vcc_lo, v14, v4, vcc_lo
	global_load_b32 v5, v[3:4], off
	s_waitcnt vmcnt(0)
	v_fmac_f32_e32 v20, s28, v5
	global_store_b32 v[3:4], v20, off
.LBB13_45:                              ;   in Loop: Header=BB13_12 Depth=1
	s_and_not1_b32 vcc_lo, exec_lo, s2
	s_cbranch_vccnz .LBB13_47
; %bb.46:                               ;   in Loop: Header=BB13_12 Depth=1
	v_lshlrev_b64 v[3:4], 2, v[1:2]
	v_mul_f32_e32 v20, s12, v19
	s_delay_alu instid0(VALU_DEP_2) | instskip(NEXT) | instid1(VALU_DEP_3)
	v_add_co_u32 v3, vcc_lo, v15, v3
	v_add_co_ci_u32_e32 v4, vcc_lo, v16, v4, vcc_lo
	global_load_b32 v5, v[3:4], off
	s_waitcnt vmcnt(0)
	v_fmac_f32_e32 v20, s28, v5
	global_store_b32 v[3:4], v20, off
.LBB13_47:                              ;   in Loop: Header=BB13_12 Depth=1
	s_cbranch_execnz .LBB13_11
	s_branch .LBB13_49
.LBB13_48:                              ;   in Loop: Header=BB13_12 Depth=1
.LBB13_49:                              ;   in Loop: Header=BB13_12 Depth=1
	v_mul_f32_e32 v3, s12, v19
	s_and_b32 vcc_lo, exec_lo, s20
	s_mov_b32 s2, -1
	s_cbranch_vccz .LBB13_51
; %bb.50:                               ;   in Loop: Header=BB13_12 Depth=1
	v_mul_lo_u32 v19, v2, s22
	v_mul_lo_u32 v20, v1, s23
	v_mad_u64_u32 v[4:5], null, v1, s22, 0
	s_mov_b32 s2, 0
	s_delay_alu instid0(VALU_DEP_1) | instskip(NEXT) | instid1(VALU_DEP_1)
	v_add3_u32 v5, v5, v20, v19
	v_lshlrev_b64 v[4:5], 2, v[4:5]
	s_delay_alu instid0(VALU_DEP_1) | instskip(NEXT) | instid1(VALU_DEP_2)
	v_add_co_u32 v4, vcc_lo, v13, v4
	v_add_co_ci_u32_e32 v5, vcc_lo, v14, v5, vcc_lo
	global_store_b32 v[4:5], v3, off
.LBB13_51:                              ;   in Loop: Header=BB13_12 Depth=1
	s_and_not1_b32 vcc_lo, exec_lo, s2
	s_cbranch_vccnz .LBB13_11
; %bb.52:                               ;   in Loop: Header=BB13_12 Depth=1
	v_lshlrev_b64 v[1:2], 2, v[1:2]
	s_delay_alu instid0(VALU_DEP_1) | instskip(NEXT) | instid1(VALU_DEP_2)
	v_add_co_u32 v1, vcc_lo, v15, v1
	v_add_co_ci_u32_e32 v2, vcc_lo, v16, v2, vcc_lo
	global_store_b32 v[1:2], v3, off
	s_branch .LBB13_11
.LBB13_53:
	s_nop 0
	s_sendmsg sendmsg(MSG_DEALLOC_VGPRS)
	s_endpgm
	.section	.rodata,"a",@progbits
	.p2align	6, 0x0
	.amdhsa_kernel _ZN9rocsparseL29bsrmm_general_blockdim_kernelILj32ELj32EliDF16_DF16_ffEEvb20rocsparse_direction_T2_S2_llNS_24const_host_device_scalarIT6_EEPKT1_PKS2_PKT3_S2_PKT4_llS5_PT5_ll16rocsparse_order_21rocsparse_index_base_b
		.amdhsa_group_segment_fixed_size 8192
		.amdhsa_private_segment_fixed_size 0
		.amdhsa_kernarg_size 140
		.amdhsa_user_sgpr_count 14
		.amdhsa_user_sgpr_dispatch_ptr 0
		.amdhsa_user_sgpr_queue_ptr 0
		.amdhsa_user_sgpr_kernarg_segment_ptr 1
		.amdhsa_user_sgpr_dispatch_id 0
		.amdhsa_user_sgpr_private_segment_size 0
		.amdhsa_wavefront_size32 1
		.amdhsa_uses_dynamic_stack 0
		.amdhsa_enable_private_segment 0
		.amdhsa_system_sgpr_workgroup_id_x 1
		.amdhsa_system_sgpr_workgroup_id_y 1
		.amdhsa_system_sgpr_workgroup_id_z 0
		.amdhsa_system_sgpr_workgroup_info 0
		.amdhsa_system_vgpr_workitem_id 1
		.amdhsa_next_free_vgpr 33
		.amdhsa_next_free_sgpr 37
		.amdhsa_reserve_vcc 1
		.amdhsa_float_round_mode_32 0
		.amdhsa_float_round_mode_16_64 0
		.amdhsa_float_denorm_mode_32 3
		.amdhsa_float_denorm_mode_16_64 3
		.amdhsa_dx10_clamp 1
		.amdhsa_ieee_mode 1
		.amdhsa_fp16_overflow 0
		.amdhsa_workgroup_processor_mode 1
		.amdhsa_memory_ordered 1
		.amdhsa_forward_progress 0
		.amdhsa_shared_vgpr_count 0
		.amdhsa_exception_fp_ieee_invalid_op 0
		.amdhsa_exception_fp_denorm_src 0
		.amdhsa_exception_fp_ieee_div_zero 0
		.amdhsa_exception_fp_ieee_overflow 0
		.amdhsa_exception_fp_ieee_underflow 0
		.amdhsa_exception_fp_ieee_inexact 0
		.amdhsa_exception_int_div_zero 0
	.end_amdhsa_kernel
	.section	.text._ZN9rocsparseL29bsrmm_general_blockdim_kernelILj32ELj32EliDF16_DF16_ffEEvb20rocsparse_direction_T2_S2_llNS_24const_host_device_scalarIT6_EEPKT1_PKS2_PKT3_S2_PKT4_llS5_PT5_ll16rocsparse_order_21rocsparse_index_base_b,"axG",@progbits,_ZN9rocsparseL29bsrmm_general_blockdim_kernelILj32ELj32EliDF16_DF16_ffEEvb20rocsparse_direction_T2_S2_llNS_24const_host_device_scalarIT6_EEPKT1_PKS2_PKT3_S2_PKT4_llS5_PT5_ll16rocsparse_order_21rocsparse_index_base_b,comdat
.Lfunc_end13:
	.size	_ZN9rocsparseL29bsrmm_general_blockdim_kernelILj32ELj32EliDF16_DF16_ffEEvb20rocsparse_direction_T2_S2_llNS_24const_host_device_scalarIT6_EEPKT1_PKS2_PKT3_S2_PKT4_llS5_PT5_ll16rocsparse_order_21rocsparse_index_base_b, .Lfunc_end13-_ZN9rocsparseL29bsrmm_general_blockdim_kernelILj32ELj32EliDF16_DF16_ffEEvb20rocsparse_direction_T2_S2_llNS_24const_host_device_scalarIT6_EEPKT1_PKS2_PKT3_S2_PKT4_llS5_PT5_ll16rocsparse_order_21rocsparse_index_base_b
                                        ; -- End function
	.section	.AMDGPU.csdata,"",@progbits
; Kernel info:
; codeLenInByte = 2216
; NumSgprs: 39
; NumVgprs: 33
; ScratchSize: 0
; MemoryBound: 0
; FloatMode: 240
; IeeeMode: 1
; LDSByteSize: 8192 bytes/workgroup (compile time only)
; SGPRBlocks: 4
; VGPRBlocks: 4
; NumSGPRsForWavesPerEU: 39
; NumVGPRsForWavesPerEU: 33
; Occupancy: 16
; WaveLimiterHint : 0
; COMPUTE_PGM_RSRC2:SCRATCH_EN: 0
; COMPUTE_PGM_RSRC2:USER_SGPR: 14
; COMPUTE_PGM_RSRC2:TRAP_HANDLER: 0
; COMPUTE_PGM_RSRC2:TGID_X_EN: 1
; COMPUTE_PGM_RSRC2:TGID_Y_EN: 1
; COMPUTE_PGM_RSRC2:TGID_Z_EN: 0
; COMPUTE_PGM_RSRC2:TIDIG_COMP_CNT: 1
	.section	.text._ZN9rocsparseL29bsrmm_general_blockdim_kernelILj32ELj32EllDF16_DF16_ffEEvb20rocsparse_direction_T2_S2_llNS_24const_host_device_scalarIT6_EEPKT1_PKS2_PKT3_S2_PKT4_llS5_PT5_ll16rocsparse_order_21rocsparse_index_base_b,"axG",@progbits,_ZN9rocsparseL29bsrmm_general_blockdim_kernelILj32ELj32EllDF16_DF16_ffEEvb20rocsparse_direction_T2_S2_llNS_24const_host_device_scalarIT6_EEPKT1_PKS2_PKT3_S2_PKT4_llS5_PT5_ll16rocsparse_order_21rocsparse_index_base_b,comdat
	.globl	_ZN9rocsparseL29bsrmm_general_blockdim_kernelILj32ELj32EllDF16_DF16_ffEEvb20rocsparse_direction_T2_S2_llNS_24const_host_device_scalarIT6_EEPKT1_PKS2_PKT3_S2_PKT4_llS5_PT5_ll16rocsparse_order_21rocsparse_index_base_b ; -- Begin function _ZN9rocsparseL29bsrmm_general_blockdim_kernelILj32ELj32EllDF16_DF16_ffEEvb20rocsparse_direction_T2_S2_llNS_24const_host_device_scalarIT6_EEPKT1_PKS2_PKT3_S2_PKT4_llS5_PT5_ll16rocsparse_order_21rocsparse_index_base_b
	.p2align	8
	.type	_ZN9rocsparseL29bsrmm_general_blockdim_kernelILj32ELj32EllDF16_DF16_ffEEvb20rocsparse_direction_T2_S2_llNS_24const_host_device_scalarIT6_EEPKT1_PKS2_PKT3_S2_PKT4_llS5_PT5_ll16rocsparse_order_21rocsparse_index_base_b,@function
_ZN9rocsparseL29bsrmm_general_blockdim_kernelILj32ELj32EllDF16_DF16_ffEEvb20rocsparse_direction_T2_S2_llNS_24const_host_device_scalarIT6_EEPKT1_PKS2_PKT3_S2_PKT4_llS5_PT5_ll16rocsparse_order_21rocsparse_index_base_b: ; @_ZN9rocsparseL29bsrmm_general_blockdim_kernelILj32ELj32EllDF16_DF16_ffEEvb20rocsparse_direction_T2_S2_llNS_24const_host_device_scalarIT6_EEPKT1_PKS2_PKT3_S2_PKT4_llS5_PT5_ll16rocsparse_order_21rocsparse_index_base_b
; %bb.0:
	s_clause 0x2
	s_load_b128 s[20:23], s[0:1], 0x88
	s_load_b64 s[12:13], s[0:1], 0x28
	s_load_b64 s[28:29], s[0:1], 0x68
	s_mov_b32 s2, s15
	s_waitcnt lgkmcnt(0)
	s_bitcmp1_b32 s22, 0
	s_cselect_b32 s3, -1, 0
	s_delay_alu instid0(SALU_CYCLE_1)
	s_and_b32 vcc_lo, exec_lo, s3
	s_xor_b32 s3, s3, -1
	s_cbranch_vccnz .LBB14_2
; %bb.1:
	s_load_b32 s12, s[12:13], 0x0
.LBB14_2:
	s_and_not1_b32 vcc_lo, exec_lo, s3
	s_cbranch_vccnz .LBB14_4
; %bb.3:
	s_load_b32 s28, s[28:29], 0x0
.LBB14_4:
	s_waitcnt lgkmcnt(0)
	v_cmp_eq_f32_e64 s3, s12, 0
	v_cmp_eq_f32_e64 s4, s28, 1.0
	s_delay_alu instid0(VALU_DEP_1) | instskip(NEXT) | instid1(SALU_CYCLE_1)
	s_and_b32 s3, s3, s4
	s_and_b32 vcc_lo, exec_lo, s3
	s_cbranch_vccnz .LBB14_53
; %bb.5:
	s_clause 0x1
	s_load_b128 s[24:27], s[0:1], 0x8
	s_load_b64 s[4:5], s[0:1], 0x30
	s_ashr_i32 s15, s14, 31
	s_mov_b64 s[22:23], 0
	s_waitcnt lgkmcnt(0)
	v_cmp_ge_i64_e64 s3, s[14:15], s[24:25]
	v_cmp_lt_i64_e64 s34, s[14:15], s[24:25]
	s_mov_b64 s[24:25], 0
	s_delay_alu instid0(VALU_DEP_2)
	s_and_b32 vcc_lo, exec_lo, s3
	s_cbranch_vccz .LBB14_8
; %bb.6:
	s_delay_alu instid0(VALU_DEP_1)
	s_and_not1_b32 vcc_lo, exec_lo, s34
	s_cbranch_vccz .LBB14_9
.LBB14_7:
	s_load_b64 s[30:31], s[0:1], 0x48
	s_waitcnt lgkmcnt(0)
	v_cmp_lt_i64_e64 s3, s[30:31], 1
	s_delay_alu instid0(VALU_DEP_1)
	s_and_b32 vcc_lo, exec_lo, s3
	s_cbranch_vccz .LBB14_10
	s_branch .LBB14_53
.LBB14_8:
	s_lshl_b64 s[6:7], s[14:15], 3
	s_delay_alu instid0(SALU_CYCLE_1)
	s_add_u32 s6, s4, s6
	s_addc_u32 s7, s5, s7
	s_load_b64 s[6:7], s[6:7], 0x0
	s_waitcnt lgkmcnt(0)
	s_sub_u32 s24, s6, s21
	s_subb_u32 s25, s7, 0
	s_and_not1_b32 vcc_lo, exec_lo, s34
	s_cbranch_vccnz .LBB14_7
.LBB14_9:
	s_lshl_b64 s[6:7], s[14:15], 3
	s_delay_alu instid0(SALU_CYCLE_1)
	s_add_u32 s4, s4, s6
	s_addc_u32 s5, s5, s7
	s_load_b64 s[4:5], s[4:5], 0x8
	s_waitcnt lgkmcnt(0)
	s_sub_u32 s22, s4, s21
	s_subb_u32 s23, s5, 0
	s_load_b64 s[30:31], s[0:1], 0x48
	s_waitcnt lgkmcnt(0)
	v_cmp_lt_i64_e64 s3, s[30:31], 1
	s_delay_alu instid0(VALU_DEP_1)
	s_and_b32 vcc_lo, exec_lo, s3
	s_cbranch_vccnz .LBB14_53
.LBB14_10:
	s_clause 0x1
	s_load_b64 s[36:37], s[0:1], 0x0
	s_load_b128 s[4:7], s[0:1], 0x70
	v_bfe_u32 v16, v0, 10, 10
	s_clause 0x1
	s_load_b128 s[8:11], s[0:1], 0x38
	s_load_b128 s[16:19], s[0:1], 0x50
	v_dual_mov_b32 v2, 0 :: v_dual_and_b32 v17, 0x3ff, v0
	s_mul_i32 s0, s14, s31
	v_lshl_add_u32 v1, s2, 5, v16
	v_lshlrev_b32_e32 v0, 5, v16
	s_mul_hi_u32 s1, s14, s30
	s_mul_i32 s13, s14, s30
	s_mul_i32 s3, s30, s31
	v_lshlrev_b64 v[3:4], 2, v[1:2]
	s_mul_hi_u32 s14, s30, s30
	v_add_lshl_u32 v22, v0, v17, 2
	v_cmp_lt_i64_e64 s41, s[24:25], s[22:23]
	v_cmp_neq_f32_e64 s39, s28, 0
	v_lshlrev_b32_e32 v26, 2, v17
	v_lshl_add_u32 v27, v16, 7, 0x1000
	s_mul_i32 s2, s30, s30
	s_waitcnt lgkmcnt(0)
	s_bitcmp1_b32 s36, 0
	v_add_co_u32 v18, vcc_lo, s4, v3
	v_add_co_ci_u32_e32 v19, vcc_lo, s5, v4, vcc_lo
	v_lshlrev_b64 v[3:4], 1, v[1:2]
	v_mad_u64_u32 v[5:6], null, v1, s6, 0
	s_cselect_b32 s15, -1, 0
	s_add_i32 s29, s1, s0
	s_add_i32 s0, s14, s3
	s_delay_alu instid0(VALU_DEP_2) | instskip(SKIP_2) | instid1(VALU_DEP_4)
	v_add_co_u32 v20, vcc_lo, s16, v3
	v_add_co_ci_u32_e32 v21, vcc_lo, s17, v4, vcc_lo
	v_mad_u64_u32 v[3:4], null, s18, v1, 0
	v_dual_mov_b32 v0, v6 :: v_dual_add_nc_u32 v23, 0x1000, v22
	s_add_i32 s3, s0, s3
	v_cmp_gt_i64_e64 s0, s[26:27], v[1:2]
	s_xor_b32 s33, s15, -1
	s_delay_alu instid0(VALU_DEP_2) | instskip(NEXT) | instid1(VALU_DEP_4)
	v_mad_u64_u32 v[6:7], null, v1, s7, v[0:1]
	v_mov_b32_e32 v0, v4
	s_cmp_lg_u32 s37, 0
	s_mul_i32 s1, s24, s31
	s_cselect_b32 s37, -1, 0
	s_and_b32 s38, s34, s0
	v_mad_u64_u32 v[7:8], null, s19, v1, v[0:1]
	s_cmp_lg_u32 s20, 1
	s_mul_hi_u32 s14, s24, s30
	s_cselect_b32 s40, -1, 0
	v_lshlrev_b64 v[0:1], 2, v[5:6]
	s_add_i32 s1, s14, s1
	s_mul_i32 s14, s25, s30
	v_lshlrev_b32_e32 v8, 1, v17
	s_add_i32 s15, s1, s14
	s_mul_i32 s14, s24, s30
	v_mov_b32_e32 v4, v7
	s_lshl_b64 s[14:15], s[14:15], 1
	v_add_co_u32 v24, vcc_lo, s4, v0
	v_add_co_u32 v7, s1, s14, v8
	s_delay_alu instid0(VALU_DEP_1) | instskip(SKIP_3) | instid1(VALU_DEP_4)
	v_add_co_ci_u32_e64 v5, null, s15, 0, s1
	v_add_co_ci_u32_e32 v25, vcc_lo, s5, v1, vcc_lo
	v_lshlrev_b32_e32 v1, 1, v16
	v_lshlrev_b64 v[3:4], 1, v[3:4]
	v_mul_lo_u32 v9, s30, v5
	v_mul_lo_u32 v10, s31, v7
	s_mov_b32 s36, s21
	v_mad_u64_u32 v[5:6], null, s30, v7, v[1:2]
	s_delay_alu instid0(VALU_DEP_4) | instskip(SKIP_2) | instid1(VALU_DEP_2)
	v_add_co_u32 v0, vcc_lo, v3, v8
	v_add_co_ci_u32_e32 v1, vcc_lo, 0, v4, vcc_lo
	s_lshl_b64 s[4:5], s[30:31], 1
	v_add_co_u32 v0, vcc_lo, s16, v0
	s_delay_alu instid0(VALU_DEP_4) | instskip(NEXT) | instid1(VALU_DEP_3)
	v_add3_u32 v3, v10, v6, v9
	v_add_co_ci_u32_e32 v1, vcc_lo, s17, v1, vcc_lo
	v_add_co_u32 v2, vcc_lo, s10, v5
	s_delay_alu instid0(VALU_DEP_3)
	v_add_co_ci_u32_e32 v3, vcc_lo, s11, v3, vcc_lo
	s_lshl_b64 s[14:15], s[30:31], 6
	s_lshl_b64 s[16:17], s[2:3], 1
	s_mov_b64 s[20:21], 0
	s_branch .LBB14_12
.LBB14_11:                              ;   in Loop: Header=BB14_12 Depth=1
	s_or_b32 exec_lo, exec_lo, s1
	s_add_u32 s20, s20, 32
	s_addc_u32 s21, s21, 0
	v_add_co_u32 v2, vcc_lo, v2, s14
	v_cmp_lt_i64_e64 s1, s[20:21], s[30:31]
	v_add_co_ci_u32_e32 v3, vcc_lo, s15, v3, vcc_lo
	s_delay_alu instid0(VALU_DEP_2)
	s_and_b32 vcc_lo, exec_lo, s1
	s_cbranch_vccz .LBB14_53
.LBB14_12:                              ; =>This Loop Header: Depth=1
                                        ;     Child Loop BB14_15 Depth 2
                                        ;       Child Loop BB14_17 Depth 3
	v_add_co_u32 v4, s1, s20, v17
	s_delay_alu instid0(VALU_DEP_1) | instskip(SKIP_2) | instid1(VALU_DEP_2)
	v_add_co_ci_u32_e64 v5, null, s21, 0, s1
	v_mov_b32_e32 v28, 0
	s_and_not1_b32 vcc_lo, exec_lo, s41
	v_cmp_gt_i64_e64 s1, s[30:31], v[4:5]
	s_cbranch_vccnz .LBB14_41
; %bb.13:                               ;   in Loop: Header=BB14_12 Depth=1
	v_lshlrev_b64 v[6:7], 1, v[4:5]
	v_mov_b32_e32 v28, 0
	s_mov_b64 s[26:27], s[24:25]
	s_delay_alu instid0(VALU_DEP_2) | instskip(NEXT) | instid1(VALU_DEP_3)
	v_add_co_u32 v29, vcc_lo, s10, v6
	v_add_co_ci_u32_e32 v30, vcc_lo, s11, v7, vcc_lo
	v_dual_mov_b32 v7, v3 :: v_dual_mov_b32 v6, v2
	s_branch .LBB14_15
.LBB14_14:                              ;   in Loop: Header=BB14_15 Depth=2
	s_add_u32 s26, s26, 1
	s_addc_u32 s27, s27, 0
	v_add_co_u32 v6, vcc_lo, v6, s16
	v_cmp_ge_i64_e64 s34, s[26:27], s[22:23]
	v_add_co_ci_u32_e32 v7, vcc_lo, s17, v7, vcc_lo
	s_delay_alu instid0(VALU_DEP_2)
	s_and_b32 vcc_lo, exec_lo, s34
	s_cbranch_vccnz .LBB14_41
.LBB14_15:                              ;   Parent Loop BB14_12 Depth=1
                                        ; =>  This Loop Header: Depth=2
                                        ;       Child Loop BB14_17 Depth 3
	s_mul_i32 s34, s2, s27
	s_mul_hi_u32 s35, s2, s26
	s_mul_i32 s43, s3, s26
	s_add_i32 s42, s35, s34
	s_lshl_b64 s[34:35], s[26:27], 3
	s_add_i32 s43, s42, s43
	s_add_u32 s34, s8, s34
	s_addc_u32 s35, s9, s35
	s_mul_i32 s42, s2, s26
	s_load_b64 s[34:35], s[34:35], 0x0
	v_dual_mov_b32 v11, v7 :: v_dual_mov_b32 v10, v6
	s_waitcnt lgkmcnt(0)
	s_sub_u32 s44, s34, s36
	s_subb_u32 s45, s35, 0
	v_mad_u64_u32 v[8:9], null, s4, s44, v[0:1]
	s_lshl_b64 s[34:35], s[42:43], 1
	s_mul_i32 s46, s5, s44
	v_add_co_u32 v31, vcc_lo, v29, s34
	s_mul_i32 s34, s4, s45
	s_mul_i32 s42, s44, s31
	s_mul_hi_u32 s43, s44, s30
	v_add_co_ci_u32_e32 v32, vcc_lo, s35, v30, vcc_lo
	v_add3_u32 v9, s34, s46, v9
	s_mul_i32 s47, s45, s30
	s_add_i32 s35, s43, s42
	s_mul_i32 s43, s44, s30
	s_add_i32 s42, s35, s47
	s_mov_b64 s[34:35], 0
	s_branch .LBB14_17
.LBB14_16:                              ;   in Loop: Header=BB14_17 Depth=3
	s_or_b32 exec_lo, exec_lo, s44
	ds_store_b32 v22, v14
	s_waitcnt lgkmcnt(0)
	s_waitcnt_vscnt null, 0x0
	s_barrier
	buffer_gl0_inv
	ds_load_2addr_b32 v[37:38], v26 offset1:32
	ds_load_b128 v[12:15], v27
	ds_load_2addr_b32 v[39:40], v26 offset0:64 offset1:96
	ds_load_b128 v[33:36], v27 offset:16
	ds_load_2addr_b32 v[41:42], v26 offset0:128 offset1:160
	s_add_u32 s34, s34, 32
	s_addc_u32 s35, s35, 0
	v_add_co_u32 v8, vcc_lo, v8, 64
	v_add_co_ci_u32_e32 v9, vcc_lo, 0, v9, vcc_lo
	v_cmp_ge_i64_e64 s44, s[34:35], s[30:31]
	v_add_co_u32 v10, vcc_lo, v10, 64
	v_add_co_ci_u32_e32 v11, vcc_lo, 0, v11, vcc_lo
	v_add_nc_u32_e32 v43, 0x400, v26
	s_delay_alu instid0(VALU_DEP_4) | instskip(SKIP_2) | instid1(VALU_DEP_1)
	s_and_b32 vcc_lo, exec_lo, s44
	s_waitcnt lgkmcnt(3)
	v_fmac_f32_e32 v28, v37, v12
	v_fmac_f32_e32 v28, v38, v13
	ds_load_2addr_b32 v[37:38], v26 offset0:192 offset1:224
	s_waitcnt lgkmcnt(3)
	v_fmac_f32_e32 v28, v39, v14
	s_delay_alu instid0(VALU_DEP_1) | instskip(SKIP_4) | instid1(VALU_DEP_1)
	v_fmac_f32_e32 v28, v40, v15
	ds_load_2addr_b32 v[39:40], v43 offset1:32
	ds_load_b128 v[12:15], v27 offset:32
	s_waitcnt lgkmcnt(3)
	v_fmac_f32_e32 v28, v41, v33
	v_fmac_f32_e32 v28, v42, v34
	ds_load_2addr_b32 v[41:42], v43 offset0:64 offset1:96
	s_waitcnt lgkmcnt(3)
	v_fmac_f32_e32 v28, v37, v35
	s_delay_alu instid0(VALU_DEP_1) | instskip(SKIP_4) | instid1(VALU_DEP_1)
	v_fmac_f32_e32 v28, v38, v36
	ds_load_b128 v[33:36], v27 offset:48
	ds_load_2addr_b32 v[37:38], v43 offset0:128 offset1:160
	s_waitcnt lgkmcnt(3)
	v_fmac_f32_e32 v28, v39, v12
	v_fmac_f32_e32 v28, v40, v13
	ds_load_2addr_b32 v[39:40], v43 offset0:192 offset1:224
	v_add_nc_u32_e32 v43, 0x800, v26
	s_waitcnt lgkmcnt(3)
	v_fmac_f32_e32 v28, v41, v14
	s_delay_alu instid0(VALU_DEP_1) | instskip(SKIP_4) | instid1(VALU_DEP_1)
	v_fmac_f32_e32 v28, v42, v15
	ds_load_2addr_b32 v[41:42], v43 offset1:32
	ds_load_b128 v[12:15], v27 offset:64
	s_waitcnt lgkmcnt(3)
	v_fmac_f32_e32 v28, v37, v33
	v_fmac_f32_e32 v28, v38, v34
	ds_load_2addr_b32 v[37:38], v43 offset0:64 offset1:96
	s_waitcnt lgkmcnt(3)
	v_fmac_f32_e32 v28, v39, v35
	s_delay_alu instid0(VALU_DEP_1) | instskip(SKIP_4) | instid1(VALU_DEP_1)
	v_fmac_f32_e32 v28, v40, v36
	ds_load_b128 v[33:36], v27 offset:80
	ds_load_2addr_b32 v[39:40], v43 offset0:128 offset1:160
	s_waitcnt lgkmcnt(3)
	v_fmac_f32_e32 v28, v41, v12
	v_fmac_f32_e32 v28, v42, v13
	ds_load_2addr_b32 v[41:42], v43 offset0:192 offset1:224
	v_add_nc_u32_e32 v43, 0xc00, v26
	s_waitcnt lgkmcnt(3)
	v_fmac_f32_e32 v28, v37, v14
	s_delay_alu instid0(VALU_DEP_1) | instskip(SKIP_4) | instid1(VALU_DEP_1)
	v_fmac_f32_e32 v28, v38, v15
	ds_load_2addr_b32 v[37:38], v43 offset1:32
	ds_load_b128 v[12:15], v27 offset:96
	s_waitcnt lgkmcnt(3)
	v_fmac_f32_e32 v28, v39, v33
	v_fmac_f32_e32 v28, v40, v34
	ds_load_2addr_b32 v[39:40], v43 offset0:64 offset1:96
	s_waitcnt lgkmcnt(3)
	v_fmac_f32_e32 v28, v41, v35
	s_delay_alu instid0(VALU_DEP_1) | instskip(SKIP_4) | instid1(VALU_DEP_1)
	v_fmac_f32_e32 v28, v42, v36
	ds_load_b128 v[33:36], v27 offset:112
	ds_load_2addr_b32 v[41:42], v43 offset0:128 offset1:160
	s_waitcnt lgkmcnt(3)
	v_fmac_f32_e32 v28, v37, v12
	v_fmac_f32_e32 v28, v38, v13
	ds_load_2addr_b32 v[12:13], v43 offset0:192 offset1:224
	s_waitcnt lgkmcnt(0)
	s_barrier
	buffer_gl0_inv
	v_fmac_f32_e32 v28, v39, v14
	s_delay_alu instid0(VALU_DEP_1) | instskip(NEXT) | instid1(VALU_DEP_1)
	v_fmac_f32_e32 v28, v40, v15
	v_fmac_f32_e32 v28, v41, v33
	s_delay_alu instid0(VALU_DEP_1) | instskip(NEXT) | instid1(VALU_DEP_1)
	v_fmac_f32_e32 v28, v42, v34
	v_fmac_f32_e32 v28, v12, v35
	s_delay_alu instid0(VALU_DEP_1)
	v_fmac_f32_e32 v28, v13, v36
	s_cbranch_vccnz .LBB14_14
.LBB14_17:                              ;   Parent Loop BB14_12 Depth=1
                                        ;     Parent Loop BB14_15 Depth=2
                                        ; =>    This Inner Loop Header: Depth=3
	s_and_b32 vcc_lo, exec_lo, s33
	s_cbranch_vccz .LBB14_23
; %bb.18:                               ;   in Loop: Header=BB14_17 Depth=3
	s_mov_b32 s44, 0
	s_mov_b32 s45, 0
                                        ; implicit-def: $vgpr12_vgpr13
	s_and_saveexec_b32 s46, s0
	s_cbranch_execz .LBB14_22
; %bb.19:                               ;   in Loop: Header=BB14_17 Depth=3
	v_add_co_u32 v14, s45, s34, v17
	s_delay_alu instid0(VALU_DEP_1) | instskip(SKIP_2) | instid1(VALU_DEP_1)
	v_add_co_ci_u32_e64 v15, null, s35, 0, s45
	s_mov_b32 s45, 0
	s_mov_b32 s47, exec_lo
                                        ; implicit-def: $vgpr12_vgpr13
	v_cmpx_gt_i64_e64 s[30:31], v[14:15]
	s_xor_b32 s47, exec_lo, s47
; %bb.20:                               ;   in Loop: Header=BB14_17 Depth=3
	v_add_co_u32 v14, vcc_lo, v14, s43
	v_add_co_ci_u32_e32 v12, vcc_lo, s42, v15, vcc_lo
	s_mov_b32 s45, exec_lo
	s_delay_alu instid0(VALU_DEP_2) | instskip(NEXT) | instid1(VALU_DEP_2)
	v_mul_lo_u32 v33, v14, s19
	v_mul_lo_u32 v15, v12, s18
	v_mad_u64_u32 v[12:13], null, v14, s18, 0
	s_delay_alu instid0(VALU_DEP_1) | instskip(NEXT) | instid1(VALU_DEP_1)
	v_add3_u32 v13, v13, v33, v15
	v_lshlrev_b64 v[12:13], 1, v[12:13]
	s_delay_alu instid0(VALU_DEP_1) | instskip(NEXT) | instid1(VALU_DEP_2)
	v_add_co_u32 v12, vcc_lo, v20, v12
	v_add_co_ci_u32_e32 v13, vcc_lo, v21, v13, vcc_lo
; %bb.21:                               ;   in Loop: Header=BB14_17 Depth=3
	s_or_b32 exec_lo, exec_lo, s47
	s_delay_alu instid0(SALU_CYCLE_1)
	s_and_b32 s45, s45, exec_lo
.LBB14_22:                              ;   in Loop: Header=BB14_17 Depth=3
	s_or_b32 exec_lo, exec_lo, s46
	s_delay_alu instid0(SALU_CYCLE_1)
	s_and_b32 vcc_lo, exec_lo, s44
	s_cbranch_vccnz .LBB14_24
	s_branch .LBB14_27
.LBB14_23:                              ;   in Loop: Header=BB14_17 Depth=3
	s_mov_b32 s44, -1
	s_mov_b32 s45, 0
                                        ; implicit-def: $vgpr12_vgpr13
	s_cbranch_execz .LBB14_27
.LBB14_24:                              ;   in Loop: Header=BB14_17 Depth=3
	s_and_saveexec_b32 s44, s0
; %bb.25:                               ;   in Loop: Header=BB14_17 Depth=3
	v_add_co_u32 v12, s46, v17, s34
	s_delay_alu instid0(VALU_DEP_1) | instskip(SKIP_1) | instid1(VALU_DEP_1)
	v_add_co_ci_u32_e64 v13, null, 0, s35, s46
	s_and_not1_b32 s45, s45, exec_lo
	v_cmp_gt_i64_e32 vcc_lo, s[30:31], v[12:13]
	s_and_b32 s46, vcc_lo, exec_lo
	s_delay_alu instid0(SALU_CYCLE_1)
	s_or_b32 s45, s45, s46
; %bb.26:                               ;   in Loop: Header=BB14_17 Depth=3
	s_or_b32 exec_lo, exec_lo, s44
	v_dual_mov_b32 v13, v9 :: v_dual_mov_b32 v12, v8
	s_mov_b32 s44, 0
.LBB14_27:                              ;   in Loop: Header=BB14_17 Depth=3
	s_delay_alu instid0(SALU_CYCLE_1)
	v_mov_b32_e32 v14, s44
	s_and_saveexec_b32 s44, s45
	s_cbranch_execnz .LBB14_35
; %bb.28:                               ;   in Loop: Header=BB14_17 Depth=3
	s_or_b32 exec_lo, exec_lo, s44
	s_delay_alu instid0(SALU_CYCLE_1)
	s_and_b32 vcc_lo, exec_lo, s37
	ds_store_b32 v23, v14
	s_cbranch_vccz .LBB14_36
.LBB14_29:                              ;   in Loop: Header=BB14_17 Depth=3
	s_mov_b32 s44, 0
	s_mov_b32 s45, 0
                                        ; implicit-def: $vgpr12_vgpr13
	s_and_saveexec_b32 s46, s1
	s_cbranch_execz .LBB14_33
; %bb.30:                               ;   in Loop: Header=BB14_17 Depth=3
	v_add_co_u32 v14, s45, s34, v16
	s_delay_alu instid0(VALU_DEP_1) | instskip(SKIP_2) | instid1(VALU_DEP_1)
	v_add_co_ci_u32_e64 v15, null, s35, 0, s45
	s_mov_b32 s45, 0
	s_mov_b32 s47, exec_lo
                                        ; implicit-def: $vgpr12_vgpr13
	v_cmpx_gt_i64_e64 s[30:31], v[14:15]
	s_xor_b32 s47, exec_lo, s47
; %bb.31:                               ;   in Loop: Header=BB14_17 Depth=3
	v_mul_lo_u32 v15, v15, s30
	v_mul_lo_u32 v33, v14, s31
	v_mad_u64_u32 v[12:13], null, v14, s30, 0
	s_mov_b32 s45, exec_lo
	s_delay_alu instid0(VALU_DEP_1) | instskip(NEXT) | instid1(VALU_DEP_1)
	v_add3_u32 v13, v13, v33, v15
	v_lshlrev_b64 v[12:13], 1, v[12:13]
	s_delay_alu instid0(VALU_DEP_1) | instskip(NEXT) | instid1(VALU_DEP_2)
	v_add_co_u32 v12, vcc_lo, v31, v12
	v_add_co_ci_u32_e32 v13, vcc_lo, v32, v13, vcc_lo
; %bb.32:                               ;   in Loop: Header=BB14_17 Depth=3
	s_or_b32 exec_lo, exec_lo, s47
	s_delay_alu instid0(SALU_CYCLE_1)
	s_and_b32 s45, s45, exec_lo
.LBB14_33:                              ;   in Loop: Header=BB14_17 Depth=3
	s_or_b32 exec_lo, exec_lo, s46
	s_delay_alu instid0(SALU_CYCLE_1)
	s_and_b32 vcc_lo, exec_lo, s44
	s_cbranch_vccnz .LBB14_37
.LBB14_34:                              ;   in Loop: Header=BB14_17 Depth=3
	v_mov_b32_e32 v14, s44
	s_and_saveexec_b32 s44, s45
	s_cbranch_execz .LBB14_16
	s_branch .LBB14_40
.LBB14_35:                              ;   in Loop: Header=BB14_17 Depth=3
	global_load_u16 v12, v[12:13], off
	s_waitcnt vmcnt(0)
	v_cvt_f32_f16_e32 v14, v12
	s_or_b32 exec_lo, exec_lo, s44
	s_delay_alu instid0(SALU_CYCLE_1)
	s_and_b32 vcc_lo, exec_lo, s37
	ds_store_b32 v23, v14
	s_cbranch_vccnz .LBB14_29
.LBB14_36:                              ;   in Loop: Header=BB14_17 Depth=3
	s_mov_b32 s44, -1
	s_mov_b32 s45, 0
                                        ; implicit-def: $vgpr12_vgpr13
	s_cbranch_execz .LBB14_34
.LBB14_37:                              ;   in Loop: Header=BB14_17 Depth=3
	s_and_saveexec_b32 s44, s1
; %bb.38:                               ;   in Loop: Header=BB14_17 Depth=3
	v_add_co_u32 v12, s46, v16, s34
	s_delay_alu instid0(VALU_DEP_1) | instskip(SKIP_1) | instid1(VALU_DEP_1)
	v_add_co_ci_u32_e64 v13, null, 0, s35, s46
	s_and_not1_b32 s45, s45, exec_lo
	v_cmp_gt_i64_e32 vcc_lo, s[30:31], v[12:13]
	s_and_b32 s46, vcc_lo, exec_lo
	s_delay_alu instid0(SALU_CYCLE_1)
	s_or_b32 s45, s45, s46
; %bb.39:                               ;   in Loop: Header=BB14_17 Depth=3
	s_or_b32 exec_lo, exec_lo, s44
	v_dual_mov_b32 v13, v11 :: v_dual_mov_b32 v12, v10
	s_mov_b32 s44, 0
	s_delay_alu instid0(SALU_CYCLE_1)
	v_mov_b32_e32 v14, s44
	s_and_saveexec_b32 s44, s45
	s_cbranch_execz .LBB14_16
.LBB14_40:                              ;   in Loop: Header=BB14_17 Depth=3
	global_load_u16 v12, v[12:13], off
	s_waitcnt vmcnt(0)
	v_cvt_f32_f16_e32 v14, v12
	s_branch .LBB14_16
.LBB14_41:                              ;   in Loop: Header=BB14_12 Depth=1
	v_cmp_gt_i64_e32 vcc_lo, s[30:31], v[4:5]
	s_and_b32 s26, s38, vcc_lo
	s_delay_alu instid0(SALU_CYCLE_1)
	s_and_saveexec_b32 s1, s26
	s_cbranch_execz .LBB14_11
; %bb.42:                               ;   in Loop: Header=BB14_12 Depth=1
	v_add_co_u32 v4, vcc_lo, v4, s13
	v_add_co_ci_u32_e32 v5, vcc_lo, s29, v5, vcc_lo
	s_and_b32 vcc_lo, exec_lo, s39
	s_cbranch_vccz .LBB14_48
; %bb.43:                               ;   in Loop: Header=BB14_12 Depth=1
	s_and_b32 vcc_lo, exec_lo, s40
	s_mov_b32 s26, -1
	s_cbranch_vccz .LBB14_45
; %bb.44:                               ;   in Loop: Header=BB14_12 Depth=1
	v_mul_lo_u32 v8, v5, s6
	v_mul_lo_u32 v9, v4, s7
	v_mad_u64_u32 v[6:7], null, v4, s6, 0
	s_mov_b32 s26, 0
	s_delay_alu instid0(VALU_DEP_1) | instskip(SKIP_1) | instid1(VALU_DEP_2)
	v_add3_u32 v7, v7, v9, v8
	v_mul_f32_e32 v9, s12, v28
	v_lshlrev_b64 v[6:7], 2, v[6:7]
	s_delay_alu instid0(VALU_DEP_1) | instskip(NEXT) | instid1(VALU_DEP_2)
	v_add_co_u32 v6, vcc_lo, v18, v6
	v_add_co_ci_u32_e32 v7, vcc_lo, v19, v7, vcc_lo
	global_load_b32 v8, v[6:7], off
	s_waitcnt vmcnt(0)
	v_fmac_f32_e32 v9, s28, v8
	global_store_b32 v[6:7], v9, off
.LBB14_45:                              ;   in Loop: Header=BB14_12 Depth=1
	s_and_not1_b32 vcc_lo, exec_lo, s26
	s_cbranch_vccnz .LBB14_47
; %bb.46:                               ;   in Loop: Header=BB14_12 Depth=1
	v_lshlrev_b64 v[6:7], 2, v[4:5]
	v_mul_f32_e32 v9, s12, v28
	s_delay_alu instid0(VALU_DEP_2) | instskip(NEXT) | instid1(VALU_DEP_3)
	v_add_co_u32 v6, vcc_lo, v24, v6
	v_add_co_ci_u32_e32 v7, vcc_lo, v25, v7, vcc_lo
	global_load_b32 v8, v[6:7], off
	s_waitcnt vmcnt(0)
	v_fmac_f32_e32 v9, s28, v8
	global_store_b32 v[6:7], v9, off
.LBB14_47:                              ;   in Loop: Header=BB14_12 Depth=1
	s_cbranch_execnz .LBB14_11
	s_branch .LBB14_49
.LBB14_48:                              ;   in Loop: Header=BB14_12 Depth=1
.LBB14_49:                              ;   in Loop: Header=BB14_12 Depth=1
	v_mul_f32_e32 v6, s12, v28
	s_and_b32 vcc_lo, exec_lo, s40
	s_mov_b32 s26, -1
	s_cbranch_vccz .LBB14_51
; %bb.50:                               ;   in Loop: Header=BB14_12 Depth=1
	v_mul_lo_u32 v9, v5, s6
	v_mul_lo_u32 v10, v4, s7
	v_mad_u64_u32 v[7:8], null, v4, s6, 0
	s_mov_b32 s26, 0
	s_delay_alu instid0(VALU_DEP_1) | instskip(NEXT) | instid1(VALU_DEP_1)
	v_add3_u32 v8, v8, v10, v9
	v_lshlrev_b64 v[7:8], 2, v[7:8]
	s_delay_alu instid0(VALU_DEP_1) | instskip(NEXT) | instid1(VALU_DEP_2)
	v_add_co_u32 v7, vcc_lo, v18, v7
	v_add_co_ci_u32_e32 v8, vcc_lo, v19, v8, vcc_lo
	global_store_b32 v[7:8], v6, off
.LBB14_51:                              ;   in Loop: Header=BB14_12 Depth=1
	s_and_not1_b32 vcc_lo, exec_lo, s26
	s_cbranch_vccnz .LBB14_11
; %bb.52:                               ;   in Loop: Header=BB14_12 Depth=1
	v_lshlrev_b64 v[4:5], 2, v[4:5]
	s_delay_alu instid0(VALU_DEP_1) | instskip(NEXT) | instid1(VALU_DEP_2)
	v_add_co_u32 v4, vcc_lo, v24, v4
	v_add_co_ci_u32_e32 v5, vcc_lo, v25, v5, vcc_lo
	global_store_b32 v[4:5], v6, off
	s_branch .LBB14_11
.LBB14_53:
	s_nop 0
	s_sendmsg sendmsg(MSG_DEALLOC_VGPRS)
	s_endpgm
	.section	.rodata,"a",@progbits
	.p2align	6, 0x0
	.amdhsa_kernel _ZN9rocsparseL29bsrmm_general_blockdim_kernelILj32ELj32EllDF16_DF16_ffEEvb20rocsparse_direction_T2_S2_llNS_24const_host_device_scalarIT6_EEPKT1_PKS2_PKT3_S2_PKT4_llS5_PT5_ll16rocsparse_order_21rocsparse_index_base_b
		.amdhsa_group_segment_fixed_size 8192
		.amdhsa_private_segment_fixed_size 0
		.amdhsa_kernarg_size 148
		.amdhsa_user_sgpr_count 14
		.amdhsa_user_sgpr_dispatch_ptr 0
		.amdhsa_user_sgpr_queue_ptr 0
		.amdhsa_user_sgpr_kernarg_segment_ptr 1
		.amdhsa_user_sgpr_dispatch_id 0
		.amdhsa_user_sgpr_private_segment_size 0
		.amdhsa_wavefront_size32 1
		.amdhsa_uses_dynamic_stack 0
		.amdhsa_enable_private_segment 0
		.amdhsa_system_sgpr_workgroup_id_x 1
		.amdhsa_system_sgpr_workgroup_id_y 1
		.amdhsa_system_sgpr_workgroup_id_z 0
		.amdhsa_system_sgpr_workgroup_info 0
		.amdhsa_system_vgpr_workitem_id 1
		.amdhsa_next_free_vgpr 44
		.amdhsa_next_free_sgpr 48
		.amdhsa_reserve_vcc 1
		.amdhsa_float_round_mode_32 0
		.amdhsa_float_round_mode_16_64 0
		.amdhsa_float_denorm_mode_32 3
		.amdhsa_float_denorm_mode_16_64 3
		.amdhsa_dx10_clamp 1
		.amdhsa_ieee_mode 1
		.amdhsa_fp16_overflow 0
		.amdhsa_workgroup_processor_mode 1
		.amdhsa_memory_ordered 1
		.amdhsa_forward_progress 0
		.amdhsa_shared_vgpr_count 0
		.amdhsa_exception_fp_ieee_invalid_op 0
		.amdhsa_exception_fp_denorm_src 0
		.amdhsa_exception_fp_ieee_div_zero 0
		.amdhsa_exception_fp_ieee_overflow 0
		.amdhsa_exception_fp_ieee_underflow 0
		.amdhsa_exception_fp_ieee_inexact 0
		.amdhsa_exception_int_div_zero 0
	.end_amdhsa_kernel
	.section	.text._ZN9rocsparseL29bsrmm_general_blockdim_kernelILj32ELj32EllDF16_DF16_ffEEvb20rocsparse_direction_T2_S2_llNS_24const_host_device_scalarIT6_EEPKT1_PKS2_PKT3_S2_PKT4_llS5_PT5_ll16rocsparse_order_21rocsparse_index_base_b,"axG",@progbits,_ZN9rocsparseL29bsrmm_general_blockdim_kernelILj32ELj32EllDF16_DF16_ffEEvb20rocsparse_direction_T2_S2_llNS_24const_host_device_scalarIT6_EEPKT1_PKS2_PKT3_S2_PKT4_llS5_PT5_ll16rocsparse_order_21rocsparse_index_base_b,comdat
.Lfunc_end14:
	.size	_ZN9rocsparseL29bsrmm_general_blockdim_kernelILj32ELj32EllDF16_DF16_ffEEvb20rocsparse_direction_T2_S2_llNS_24const_host_device_scalarIT6_EEPKT1_PKS2_PKT3_S2_PKT4_llS5_PT5_ll16rocsparse_order_21rocsparse_index_base_b, .Lfunc_end14-_ZN9rocsparseL29bsrmm_general_blockdim_kernelILj32ELj32EllDF16_DF16_ffEEvb20rocsparse_direction_T2_S2_llNS_24const_host_device_scalarIT6_EEPKT1_PKS2_PKT3_S2_PKT4_llS5_PT5_ll16rocsparse_order_21rocsparse_index_base_b
                                        ; -- End function
	.section	.AMDGPU.csdata,"",@progbits
; Kernel info:
; codeLenInByte = 2616
; NumSgprs: 50
; NumVgprs: 44
; ScratchSize: 0
; MemoryBound: 0
; FloatMode: 240
; IeeeMode: 1
; LDSByteSize: 8192 bytes/workgroup (compile time only)
; SGPRBlocks: 6
; VGPRBlocks: 5
; NumSGPRsForWavesPerEU: 50
; NumVGPRsForWavesPerEU: 44
; Occupancy: 16
; WaveLimiterHint : 1
; COMPUTE_PGM_RSRC2:SCRATCH_EN: 0
; COMPUTE_PGM_RSRC2:USER_SGPR: 14
; COMPUTE_PGM_RSRC2:TRAP_HANDLER: 0
; COMPUTE_PGM_RSRC2:TGID_X_EN: 1
; COMPUTE_PGM_RSRC2:TGID_Y_EN: 1
; COMPUTE_PGM_RSRC2:TGID_Z_EN: 0
; COMPUTE_PGM_RSRC2:TIDIG_COMP_CNT: 1
	.section	.text._ZN9rocsparseL29bsrmm_general_blockdim_kernelILj32ELj32EiiaaiiEEvb20rocsparse_direction_T2_S2_llNS_24const_host_device_scalarIT6_EEPKT1_PKS2_PKT3_S2_PKT4_llS5_PT5_ll16rocsparse_order_21rocsparse_index_base_b,"axG",@progbits,_ZN9rocsparseL29bsrmm_general_blockdim_kernelILj32ELj32EiiaaiiEEvb20rocsparse_direction_T2_S2_llNS_24const_host_device_scalarIT6_EEPKT1_PKS2_PKT3_S2_PKT4_llS5_PT5_ll16rocsparse_order_21rocsparse_index_base_b,comdat
	.globl	_ZN9rocsparseL29bsrmm_general_blockdim_kernelILj32ELj32EiiaaiiEEvb20rocsparse_direction_T2_S2_llNS_24const_host_device_scalarIT6_EEPKT1_PKS2_PKT3_S2_PKT4_llS5_PT5_ll16rocsparse_order_21rocsparse_index_base_b ; -- Begin function _ZN9rocsparseL29bsrmm_general_blockdim_kernelILj32ELj32EiiaaiiEEvb20rocsparse_direction_T2_S2_llNS_24const_host_device_scalarIT6_EEPKT1_PKS2_PKT3_S2_PKT4_llS5_PT5_ll16rocsparse_order_21rocsparse_index_base_b
	.p2align	8
	.type	_ZN9rocsparseL29bsrmm_general_blockdim_kernelILj32ELj32EiiaaiiEEvb20rocsparse_direction_T2_S2_llNS_24const_host_device_scalarIT6_EEPKT1_PKS2_PKT3_S2_PKT4_llS5_PT5_ll16rocsparse_order_21rocsparse_index_base_b,@function
_ZN9rocsparseL29bsrmm_general_blockdim_kernelILj32ELj32EiiaaiiEEvb20rocsparse_direction_T2_S2_llNS_24const_host_device_scalarIT6_EEPKT1_PKS2_PKT3_S2_PKT4_llS5_PT5_ll16rocsparse_order_21rocsparse_index_base_b: ; @_ZN9rocsparseL29bsrmm_general_blockdim_kernelILj32ELj32EiiaaiiEEvb20rocsparse_direction_T2_S2_llNS_24const_host_device_scalarIT6_EEPKT1_PKS2_PKT3_S2_PKT4_llS5_PT5_ll16rocsparse_order_21rocsparse_index_base_b
; %bb.0:
	s_clause 0x1
	s_load_b128 s[4:7], s[0:1], 0x80
	s_load_b64 s[8:9], s[0:1], 0x20
	s_mov_b32 s2, s15
	s_mov_b32 s10, -1
                                        ; implicit-def: $sgpr12
	s_waitcnt lgkmcnt(0)
	s_bitcmp1_b32 s6, 0
	s_cselect_b32 s3, -1, 0
	s_delay_alu instid0(SALU_CYCLE_1) | instskip(NEXT) | instid1(SALU_CYCLE_1)
	s_xor_b32 s3, s3, -1
	s_and_b32 vcc_lo, exec_lo, s3
	s_cbranch_vccnz .LBB15_4
; %bb.1:
	s_load_b64 s[6:7], s[0:1], 0x60
	s_and_not1_b32 vcc_lo, exec_lo, s10
	s_cbranch_vccz .LBB15_5
.LBB15_2:
	s_and_b32 vcc_lo, exec_lo, s3
	s_cbranch_vccz .LBB15_6
.LBB15_3:
	s_waitcnt lgkmcnt(0)
	s_load_b32 s13, s[6:7], 0x0
	s_cbranch_execz .LBB15_7
	s_branch .LBB15_8
.LBB15_4:
	s_load_b32 s12, s[8:9], 0x0
	s_load_b64 s[6:7], s[0:1], 0x60
	s_cbranch_execnz .LBB15_2
.LBB15_5:
	s_waitcnt lgkmcnt(0)
	s_mov_b32 s12, s8
	s_and_b32 vcc_lo, exec_lo, s3
	s_cbranch_vccnz .LBB15_3
.LBB15_6:
                                        ; implicit-def: $sgpr13
.LBB15_7:
	s_waitcnt lgkmcnt(0)
	s_mov_b32 s13, s6
.LBB15_8:
	s_waitcnt lgkmcnt(0)
	s_cmp_eq_u32 s12, 0
	s_mov_b32 s28, 0
	s_cselect_b32 s3, -1, 0
	s_cmp_eq_u32 s13, 1
	s_cselect_b32 s6, -1, 0
	s_delay_alu instid0(SALU_CYCLE_1) | instskip(NEXT) | instid1(SALU_CYCLE_1)
	s_and_b32 s3, s3, s6
	s_and_b32 vcc_lo, exec_lo, s3
	s_cbranch_vccnz .LBB15_61
; %bb.9:
	s_clause 0x1
	s_load_b128 s[24:27], s[0:1], 0x0
	s_load_b64 s[6:7], s[0:1], 0x28
	s_waitcnt lgkmcnt(0)
	s_cmp_lt_i32 s14, s26
	s_cselect_b32 s3, -1, 0
	s_cmp_ge_i32 s14, s26
	s_cbranch_scc0 .LBB15_12
; %bb.10:
	s_and_not1_b32 vcc_lo, exec_lo, s3
	s_mov_b32 s15, 0
	s_cbranch_vccz .LBB15_13
.LBB15_11:
	s_load_b32 s6, s[0:1], 0x40
	s_waitcnt lgkmcnt(0)
	s_cmp_lt_i32 s6, 1
	s_cbranch_scc0 .LBB15_14
	s_branch .LBB15_61
.LBB15_12:
	s_ashr_i32 s15, s14, 31
	s_delay_alu instid0(SALU_CYCLE_1) | instskip(NEXT) | instid1(SALU_CYCLE_1)
	s_lshl_b64 s[8:9], s[14:15], 2
	s_add_u32 s8, s6, s8
	s_addc_u32 s9, s7, s9
	s_load_b32 s8, s[8:9], 0x0
	s_waitcnt lgkmcnt(0)
	s_sub_i32 s28, s8, s5
	s_and_not1_b32 vcc_lo, exec_lo, s3
	s_mov_b32 s15, 0
	s_cbranch_vccnz .LBB15_11
.LBB15_13:
	s_ashr_i32 s15, s14, 31
	s_delay_alu instid0(SALU_CYCLE_1) | instskip(NEXT) | instid1(SALU_CYCLE_1)
	s_lshl_b64 s[8:9], s[14:15], 2
	s_add_u32 s6, s6, s8
	s_addc_u32 s7, s7, s9
	s_load_b32 s6, s[6:7], 0x4
	s_waitcnt lgkmcnt(0)
	s_sub_i32 s15, s6, s5
	s_load_b32 s6, s[0:1], 0x40
	s_waitcnt lgkmcnt(0)
	s_cmp_lt_i32 s6, 1
	s_cbranch_scc1 .LBB15_61
.LBB15_14:
	s_clause 0x1
	s_load_b128 s[8:11], s[0:1], 0x48
	s_load_b128 s[16:19], s[0:1], 0x68
	v_bfe_u32 v1, v0, 10, 10
	v_and_b32_e32 v0, 0x3ff, v0
	s_bitcmp1_b32 s24, 0
	s_load_b128 s[20:23], s[0:1], 0x30
	s_cselect_b32 s0, -1, 0
	v_lshl_add_u32 v6, s2, 5, v1
	v_lshlrev_b32_e32 v2, 5, v1
	s_xor_b32 s7, s0, -1
	v_mad_u64_u32 v[19:20], null, s28, s6, v[0:1]
	s_delay_alu instid0(VALU_DEP_3) | instskip(NEXT) | instid1(VALU_DEP_3)
	v_ashrrev_i32_e32 v7, 31, v6
	v_add_lshl_u32 v11, v2, v0, 2
	v_cmp_gt_i32_e64 s0, s27, v6
	s_cmp_lt_i32 s28, s15
	v_lshlrev_b32_e32 v17, 2, v0
	s_cselect_b32 s24, -1, 0
	s_cmp_lg_u32 s25, 0
	v_add_nc_u32_e32 v12, 0x1000, v11
	s_waitcnt lgkmcnt(0)
	v_mul_lo_u32 v10, v7, s10
	v_mul_lo_u32 v14, v7, s18
	;; [unrolled: 1-line block ×3, first 2 shown]
	v_mad_u64_u32 v[8:9], null, v6, s18, 0
	v_mul_lo_u32 v13, v6, s11
	v_mad_u64_u32 v[2:3], null, v6, s10, s[8:9]
	v_add_co_u32 v4, vcc_lo, s8, v6
	v_add_co_ci_u32_e32 v5, vcc_lo, s9, v7, vcc_lo
	v_add3_u32 v9, v9, v15, v14
	v_lshlrev_b64 v[6:7], 2, v[6:7]
	v_add3_u32 v3, v10, v3, v13
	s_cselect_b32 s8, -1, 0
	s_and_b32 s9, s3, s0
	v_lshlrev_b64 v[8:9], 2, v[8:9]
	s_cmp_lg_u32 s13, 0
	v_add_co_u32 v13, vcc_lo, s16, v6
	v_add_co_ci_u32_e32 v14, vcc_lo, s17, v7, vcc_lo
	v_mad_u64_u32 v[6:7], null, s6, v19, v[1:2]
	s_delay_alu instid0(VALU_DEP_4)
	v_add_co_u32 v15, vcc_lo, s16, v8
	v_add_co_ci_u32_e32 v16, vcc_lo, s17, v9, vcc_lo
	v_lshl_add_u32 v18, v1, 7, 0x1000
	v_add_nc_u32_e32 v19, 0x400, v17
	v_add_nc_u32_e32 v20, 0x800, v17
	v_add_nc_u32_e32 v21, 0xc00, v17
	s_cselect_b32 s26, -1, 0
	s_cmp_lg_u32 s4, 1
	s_mul_i32 s14, s14, s6
	s_mov_b32 s25, 0
	s_cselect_b32 s4, -1, 0
	s_lshl_b32 s16, s6, 5
	s_mul_i32 s17, s6, s6
	s_branch .LBB15_16
.LBB15_15:                              ;   in Loop: Header=BB15_16 Depth=1
	s_or_b32 exec_lo, exec_lo, s1
	v_add_nc_u32_e32 v6, s16, v6
	s_add_i32 s25, s25, 32
	s_delay_alu instid0(SALU_CYCLE_1)
	s_cmp_lt_i32 s25, s6
	s_cbranch_scc0 .LBB15_61
.LBB15_16:                              ; =>This Loop Header: Depth=1
                                        ;     Child Loop BB15_19 Depth 2
                                        ;       Child Loop BB15_21 Depth 3
	v_dual_mov_b32 v22, 0 :: v_dual_add_nc_u32 v7, s25, v0
	s_and_not1_b32 vcc_lo, exec_lo, s24
	s_delay_alu instid0(VALU_DEP_1)
	v_cmp_gt_i32_e64 s1, s6, v7
	s_cbranch_vccnz .LBB15_49
; %bb.17:                               ;   in Loop: Header=BB15_16 Depth=1
	v_dual_mov_b32 v22, 0 :: v_dual_mov_b32 v23, v6
	s_mov_b32 s2, s28
	s_branch .LBB15_19
.LBB15_18:                              ;   in Loop: Header=BB15_19 Depth=2
	v_add_nc_u32_e32 v23, s17, v23
	s_add_i32 s2, s2, 1
	s_delay_alu instid0(SALU_CYCLE_1)
	s_cmp_ge_i32 s2, s15
	s_cbranch_scc1 .LBB15_49
.LBB15_19:                              ;   Parent Loop BB15_16 Depth=1
                                        ; =>  This Loop Header: Depth=2
                                        ;       Child Loop BB15_21 Depth 3
	s_ashr_i32 s3, s2, 31
	s_mov_b32 s27, 0
	s_lshl_b64 s[30:31], s[2:3], 2
	s_delay_alu instid0(SALU_CYCLE_1) | instskip(SKIP_4) | instid1(SALU_CYCLE_1)
	s_add_u32 s30, s20, s30
	s_addc_u32 s31, s21, s31
	s_load_b32 s3, s[30:31], 0x0
	s_waitcnt lgkmcnt(0)
	s_sub_i32 s3, s3, s5
	v_mad_u64_u32 v[8:9], null, s3, s6, v[0:1]
	s_mul_i32 s3, s2, s6
	s_branch .LBB15_21
.LBB15_20:                              ;   in Loop: Header=BB15_21 Depth=3
	s_or_b32 exec_lo, exec_lo, s30
	s_waitcnt vmcnt(0)
	ds_store_b32 v11, v10
	s_waitcnt lgkmcnt(0)
	s_waitcnt_vscnt null, 0x0
	s_barrier
	buffer_gl0_inv
	ds_load_2addr_b32 v[9:10], v17 offset0:64 offset1:96
	ds_load_b128 v[24:27], v18
	ds_load_2addr_b32 v[55:56], v17 offset1:32
	ds_load_b128 v[28:31], v18 offset:16
	ds_load_2addr_b32 v[44:45], v17 offset0:192 offset1:224
	ds_load_2addr_b32 v[57:58], v17 offset0:128 offset1:160
	ds_load_2addr_b32 v[48:49], v19 offset0:64 offset1:96
	ds_load_b128 v[32:35], v18 offset:32
	ds_load_2addr_b32 v[59:60], v19 offset1:32
	ds_load_b128 v[36:39], v18 offset:48
	ds_load_2addr_b32 v[50:51], v19 offset0:192 offset1:224
	ds_load_2addr_b32 v[61:62], v19 offset0:128 offset1:160
	;; [unrolled: 1-line block ×3, first 2 shown]
	ds_load_b128 v[40:43], v18 offset:64
	ds_load_2addr_b32 v[63:64], v20 offset1:32
	s_add_i32 s27, s27, 32
	s_delay_alu instid0(SALU_CYCLE_1)
	s_cmp_ge_i32 s27, s6
	s_waitcnt lgkmcnt(13)
	v_mul_lo_u32 v67, v26, v9
	v_mul_lo_u32 v9, v27, v10
	s_waitcnt lgkmcnt(12)
	v_mul_lo_u32 v68, v24, v55
	s_waitcnt lgkmcnt(10)
	v_mul_lo_u32 v69, v30, v44
	v_mul_lo_u32 v10, v31, v45
	ds_load_2addr_b32 v[26:27], v20 offset0:192 offset1:224
	ds_load_b128 v[44:47], v18 offset:80
	ds_load_2addr_b32 v[30:31], v20 offset0:128 offset1:160
	s_waitcnt lgkmcnt(12)
	v_mul_lo_u32 v70, v28, v57
	s_waitcnt lgkmcnt(10)
	v_mul_lo_u32 v71, v34, v48
	;; [unrolled: 2-line block ×3, first 2 shown]
	v_mul_lo_u32 v24, v35, v49
	s_waitcnt lgkmcnt(7)
	v_mul_lo_u32 v72, v38, v50
	v_mul_lo_u32 v28, v39, v51
	s_waitcnt lgkmcnt(4)
	v_mul_lo_u32 v73, v42, v52
	v_mul_lo_u32 v32, v43, v53
	ds_load_2addr_b32 v[34:35], v21 offset1:32
	ds_load_2addr_b32 v[38:39], v21 offset0:64 offset1:96
	ds_load_b128 v[48:51], v18 offset:96
	ds_load_2addr_b32 v[42:43], v21 offset0:192 offset1:224
	ds_load_b128 v[52:55], v18 offset:112
	v_mad_u64_u32 v[65:66], null, v25, v56, v[9:10]
	v_mad_u64_u32 v[56:57], null, v29, v58, v[10:11]
	v_mul_lo_u32 v61, v36, v61
	s_waitcnt lgkmcnt(8)
	v_mul_lo_u32 v40, v40, v63
	s_waitcnt lgkmcnt(6)
	v_mul_lo_u32 v46, v46, v26
	v_mad_u64_u32 v[25:26], null, v33, v60, v[24:25]
	v_add3_u32 v33, v68, v67, v65
	v_mul_lo_u32 v9, v47, v27
	ds_load_2addr_b32 v[26:27], v21 offset0:128 offset1:160
	s_waitcnt lgkmcnt(6)
	v_mul_lo_u32 v44, v44, v30
	v_mad_u64_u32 v[29:30], null, v37, v62, v[28:29]
	v_mad_u64_u32 v[36:37], null, v41, v64, v[32:33]
	v_add3_u32 v47, v70, v69, v56
	v_add3_u32 v25, v59, v71, v25
	s_waitcnt lgkmcnt(3)
	v_mul_lo_u32 v10, v51, v39
	s_waitcnt lgkmcnt(1)
	v_mul_lo_u32 v24, v55, v43
	v_mul_lo_u32 v32, v50, v38
	;; [unrolled: 1-line block ×3, first 2 shown]
	v_add3_u32 v25, v33, v47, v25
	v_add3_u32 v33, v61, v72, v29
	;; [unrolled: 1-line block ×3, first 2 shown]
	s_waitcnt lgkmcnt(0)
	v_mad_u64_u32 v[28:29], null, v45, v31, v[9:10]
	v_mad_u64_u32 v[29:30], null, v49, v35, v[10:11]
	s_delay_alu instid0(VALU_DEP_3)
	v_add3_u32 v25, v25, v33, v36
	v_mul_lo_u32 v30, v54, v42
	v_mul_lo_u32 v26, v52, v26
	s_barrier
	buffer_gl0_inv
	v_mad_u64_u32 v[9:10], null, v53, v27, v[24:25]
	v_add3_u32 v10, v44, v46, v28
	v_add3_u32 v24, v34, v32, v29
	s_delay_alu instid0(VALU_DEP_1) | instskip(NEXT) | instid1(VALU_DEP_4)
	v_add3_u32 v10, v25, v10, v24
	v_add3_u32 v9, v26, v30, v9
	s_delay_alu instid0(VALU_DEP_1)
	v_add3_u32 v22, v10, v9, v22
	s_cbranch_scc1 .LBB15_18
.LBB15_21:                              ;   Parent Loop BB15_16 Depth=1
                                        ;     Parent Loop BB15_19 Depth=2
                                        ; =>    This Inner Loop Header: Depth=3
	s_and_b32 vcc_lo, exec_lo, s7
	s_cbranch_vccz .LBB15_27
; %bb.22:                               ;   in Loop: Header=BB15_21 Depth=3
	s_mov_b32 s30, 0
	s_mov_b32 s29, 0
                                        ; implicit-def: $vgpr9_vgpr10
	s_and_saveexec_b32 s31, s0
	s_cbranch_execz .LBB15_26
; %bb.23:                               ;   in Loop: Header=BB15_21 Depth=3
	v_add_nc_u32_e32 v9, s27, v0
	s_delay_alu instid0(VALU_DEP_1) | instskip(SKIP_1) | instid1(SALU_CYCLE_1)
	v_cmp_gt_i32_e32 vcc_lo, s6, v9
                                        ; implicit-def: $vgpr9_vgpr10
	s_and_saveexec_b32 s33, vcc_lo
	s_xor_b32 s33, exec_lo, s33
; %bb.24:                               ;   in Loop: Header=BB15_21 Depth=3
	v_add_nc_u32_e32 v24, s27, v8
	s_mov_b32 s29, exec_lo
	s_delay_alu instid0(VALU_DEP_1) | instskip(SKIP_1) | instid1(VALU_DEP_2)
	v_ashrrev_i32_e32 v9, 31, v24
	v_mul_lo_u32 v25, v24, s11
	v_mul_lo_u32 v26, v9, s10
	v_mad_u64_u32 v[9:10], null, v24, s10, v[4:5]
	s_delay_alu instid0(VALU_DEP_1)
	v_add3_u32 v10, v26, v10, v25
; %bb.25:                               ;   in Loop: Header=BB15_21 Depth=3
	s_or_b32 exec_lo, exec_lo, s33
	s_delay_alu instid0(SALU_CYCLE_1)
	s_and_b32 s29, s29, exec_lo
.LBB15_26:                              ;   in Loop: Header=BB15_21 Depth=3
	s_or_b32 exec_lo, exec_lo, s31
	s_delay_alu instid0(SALU_CYCLE_1)
	s_and_b32 vcc_lo, exec_lo, s30
	s_cbranch_vccnz .LBB15_28
	s_branch .LBB15_33
.LBB15_27:                              ;   in Loop: Header=BB15_21 Depth=3
	s_mov_b32 s30, -1
	s_mov_b32 s29, 0
                                        ; implicit-def: $vgpr9_vgpr10
	s_cbranch_execz .LBB15_33
.LBB15_28:                              ;   in Loop: Header=BB15_21 Depth=3
                                        ; implicit-def: $vgpr9_vgpr10
	s_and_saveexec_b32 s30, s0
	s_cbranch_execz .LBB15_32
; %bb.29:                               ;   in Loop: Header=BB15_21 Depth=3
	v_add_nc_u32_e32 v9, s27, v0
	s_mov_b32 s33, s29
	s_delay_alu instid0(VALU_DEP_1)
	v_cmp_gt_i32_e32 vcc_lo, s6, v9
                                        ; implicit-def: $vgpr9_vgpr10
	s_and_saveexec_b32 s31, vcc_lo
; %bb.30:                               ;   in Loop: Header=BB15_21 Depth=3
	v_add_nc_u32_e32 v9, s27, v8
	s_or_b32 s33, s29, exec_lo
	s_delay_alu instid0(VALU_DEP_1) | instskip(SKIP_1) | instid1(VALU_DEP_2)
	v_ashrrev_i32_e32 v10, 31, v9
	v_add_co_u32 v9, vcc_lo, v2, v9
	v_add_co_ci_u32_e32 v10, vcc_lo, v3, v10, vcc_lo
; %bb.31:                               ;   in Loop: Header=BB15_21 Depth=3
	s_or_b32 exec_lo, exec_lo, s31
	s_delay_alu instid0(SALU_CYCLE_1) | instskip(SKIP_1) | instid1(SALU_CYCLE_1)
	s_and_not1_b32 s29, s29, exec_lo
	s_and_b32 s31, s33, exec_lo
	s_or_b32 s29, s29, s31
.LBB15_32:                              ;   in Loop: Header=BB15_21 Depth=3
	s_or_b32 exec_lo, exec_lo, s30
	s_mov_b32 s30, 0
.LBB15_33:                              ;   in Loop: Header=BB15_21 Depth=3
	s_delay_alu instid0(SALU_CYCLE_1)
	v_mov_b32_e32 v24, s30
	s_and_saveexec_b32 s30, s29
	s_cbranch_execnz .LBB15_41
; %bb.34:                               ;   in Loop: Header=BB15_21 Depth=3
	s_or_b32 exec_lo, exec_lo, s30
	s_delay_alu instid0(SALU_CYCLE_1)
	s_and_b32 vcc_lo, exec_lo, s8
	ds_store_b32 v12, v24
	s_cbranch_vccz .LBB15_42
.LBB15_35:                              ;   in Loop: Header=BB15_21 Depth=3
	s_mov_b32 s30, 0
	s_mov_b32 s29, 0
                                        ; implicit-def: $vgpr9
	s_and_saveexec_b32 s31, s1
	s_cbranch_execz .LBB15_39
; %bb.36:                               ;   in Loop: Header=BB15_21 Depth=3
	v_add_nc_u32_e32 v10, s27, v1
	s_mov_b32 s33, exec_lo
                                        ; implicit-def: $vgpr9
	s_delay_alu instid0(VALU_DEP_1)
	v_cmpx_gt_i32_e64 s6, v10
	s_xor_b32 s33, exec_lo, s33
; %bb.37:                               ;   in Loop: Header=BB15_21 Depth=3
	v_add_nc_u32_e32 v24, s3, v10
	s_mov_b32 s29, exec_lo
	s_delay_alu instid0(VALU_DEP_1)
	v_mad_u64_u32 v[9:10], null, v24, s6, v[7:8]
; %bb.38:                               ;   in Loop: Header=BB15_21 Depth=3
	s_or_b32 exec_lo, exec_lo, s33
	s_delay_alu instid0(SALU_CYCLE_1)
	s_and_b32 s29, s29, exec_lo
.LBB15_39:                              ;   in Loop: Header=BB15_21 Depth=3
	s_or_b32 exec_lo, exec_lo, s31
	s_delay_alu instid0(SALU_CYCLE_1)
	s_and_b32 vcc_lo, exec_lo, s30
	s_cbranch_vccnz .LBB15_43
.LBB15_40:                              ;   in Loop: Header=BB15_21 Depth=3
	v_mov_b32_e32 v10, s30
	s_and_saveexec_b32 s30, s29
	s_cbranch_execz .LBB15_20
	s_branch .LBB15_48
.LBB15_41:                              ;   in Loop: Header=BB15_21 Depth=3
	global_load_i8 v24, v[9:10], off
	s_or_b32 exec_lo, exec_lo, s30
	s_delay_alu instid0(SALU_CYCLE_1)
	s_and_b32 vcc_lo, exec_lo, s8
	s_waitcnt vmcnt(0)
	ds_store_b32 v12, v24
	s_cbranch_vccnz .LBB15_35
.LBB15_42:                              ;   in Loop: Header=BB15_21 Depth=3
	s_mov_b32 s30, -1
	s_mov_b32 s29, 0
                                        ; implicit-def: $vgpr9
	s_cbranch_execz .LBB15_40
.LBB15_43:                              ;   in Loop: Header=BB15_21 Depth=3
                                        ; implicit-def: $vgpr9
	s_and_saveexec_b32 s30, s1
	s_cbranch_execz .LBB15_47
; %bb.44:                               ;   in Loop: Header=BB15_21 Depth=3
	v_add_nc_u32_e32 v9, s27, v1
	s_mov_b32 s31, s29
	s_delay_alu instid0(VALU_DEP_1)
	v_cmp_gt_i32_e32 vcc_lo, s6, v9
                                        ; implicit-def: $vgpr9
	s_and_saveexec_b32 s33, vcc_lo
; %bb.45:                               ;   in Loop: Header=BB15_21 Depth=3
	v_add_nc_u32_e32 v9, s27, v23
	s_or_b32 s31, s29, exec_lo
; %bb.46:                               ;   in Loop: Header=BB15_21 Depth=3
	s_or_b32 exec_lo, exec_lo, s33
	s_delay_alu instid0(SALU_CYCLE_1) | instskip(SKIP_1) | instid1(SALU_CYCLE_1)
	s_and_not1_b32 s29, s29, exec_lo
	s_and_b32 s31, s31, exec_lo
	s_or_b32 s29, s29, s31
.LBB15_47:                              ;   in Loop: Header=BB15_21 Depth=3
	s_or_b32 exec_lo, exec_lo, s30
	s_mov_b32 s30, 0
	s_delay_alu instid0(SALU_CYCLE_1)
	v_mov_b32_e32 v10, s30
	s_and_saveexec_b32 s30, s29
	s_cbranch_execz .LBB15_20
.LBB15_48:                              ;   in Loop: Header=BB15_21 Depth=3
	v_ashrrev_i32_e32 v10, 31, v9
	v_add_co_u32 v9, vcc_lo, s22, v9
	s_delay_alu instid0(VALU_DEP_2)
	v_add_co_ci_u32_e32 v10, vcc_lo, s23, v10, vcc_lo
	global_load_i8 v10, v[9:10], off
	s_branch .LBB15_20
.LBB15_49:                              ;   in Loop: Header=BB15_16 Depth=1
	v_cmp_gt_i32_e32 vcc_lo, s6, v7
	s_and_b32 s2, s9, vcc_lo
	s_delay_alu instid0(SALU_CYCLE_1)
	s_and_saveexec_b32 s1, s2
	s_cbranch_execz .LBB15_15
; %bb.50:                               ;   in Loop: Header=BB15_16 Depth=1
	v_add_nc_u32_e32 v7, s14, v7
	s_and_b32 vcc_lo, exec_lo, s26
	s_delay_alu instid0(VALU_DEP_1)
	v_ashrrev_i32_e32 v8, 31, v7
	s_cbranch_vccz .LBB15_56
; %bb.51:                               ;   in Loop: Header=BB15_16 Depth=1
	s_and_b32 vcc_lo, exec_lo, s4
	s_mov_b32 s2, -1
	s_cbranch_vccz .LBB15_53
; %bb.52:                               ;   in Loop: Header=BB15_16 Depth=1
	v_mul_lo_u32 v23, v8, s18
	v_mul_lo_u32 v24, v7, s19
	v_mad_u64_u32 v[9:10], null, v7, s18, 0
	s_mov_b32 s2, 0
	s_delay_alu instid0(VALU_DEP_1) | instskip(SKIP_1) | instid1(VALU_DEP_2)
	v_add3_u32 v10, v10, v24, v23
	v_mul_lo_u32 v23, v22, s12
	v_lshlrev_b64 v[9:10], 2, v[9:10]
	s_delay_alu instid0(VALU_DEP_1) | instskip(NEXT) | instid1(VALU_DEP_2)
	v_add_co_u32 v9, vcc_lo, v13, v9
	v_add_co_ci_u32_e32 v10, vcc_lo, v14, v10, vcc_lo
	global_load_b32 v26, v[9:10], off
	s_waitcnt vmcnt(0)
	v_mad_u64_u32 v[24:25], null, v26, s13, v[23:24]
	global_store_b32 v[9:10], v24, off
.LBB15_53:                              ;   in Loop: Header=BB15_16 Depth=1
	s_and_not1_b32 vcc_lo, exec_lo, s2
	s_cbranch_vccnz .LBB15_55
; %bb.54:                               ;   in Loop: Header=BB15_16 Depth=1
	v_lshlrev_b64 v[9:10], 2, v[7:8]
	v_mul_lo_u32 v23, v22, s12
	s_delay_alu instid0(VALU_DEP_2) | instskip(NEXT) | instid1(VALU_DEP_3)
	v_add_co_u32 v9, vcc_lo, v15, v9
	v_add_co_ci_u32_e32 v10, vcc_lo, v16, v10, vcc_lo
	global_load_b32 v26, v[9:10], off
	s_waitcnt vmcnt(0)
	v_mad_u64_u32 v[24:25], null, v26, s13, v[23:24]
	global_store_b32 v[9:10], v24, off
.LBB15_55:                              ;   in Loop: Header=BB15_16 Depth=1
	s_cbranch_execnz .LBB15_15
	s_branch .LBB15_57
.LBB15_56:                              ;   in Loop: Header=BB15_16 Depth=1
.LBB15_57:                              ;   in Loop: Header=BB15_16 Depth=1
	v_mul_lo_u32 v9, v22, s12
	s_and_b32 vcc_lo, exec_lo, s4
	s_mov_b32 s2, -1
	s_cbranch_vccz .LBB15_59
; %bb.58:                               ;   in Loop: Header=BB15_16 Depth=1
	v_mul_lo_u32 v10, v8, s18
	v_mul_lo_u32 v24, v7, s19
	v_mad_u64_u32 v[22:23], null, v7, s18, 0
	s_mov_b32 s2, 0
	s_delay_alu instid0(VALU_DEP_1) | instskip(NEXT) | instid1(VALU_DEP_1)
	v_add3_u32 v23, v23, v24, v10
	v_lshlrev_b64 v[22:23], 2, v[22:23]
	s_delay_alu instid0(VALU_DEP_1) | instskip(NEXT) | instid1(VALU_DEP_2)
	v_add_co_u32 v22, vcc_lo, v13, v22
	v_add_co_ci_u32_e32 v23, vcc_lo, v14, v23, vcc_lo
	global_store_b32 v[22:23], v9, off
.LBB15_59:                              ;   in Loop: Header=BB15_16 Depth=1
	s_and_not1_b32 vcc_lo, exec_lo, s2
	s_cbranch_vccnz .LBB15_15
; %bb.60:                               ;   in Loop: Header=BB15_16 Depth=1
	v_lshlrev_b64 v[7:8], 2, v[7:8]
	s_delay_alu instid0(VALU_DEP_1) | instskip(NEXT) | instid1(VALU_DEP_2)
	v_add_co_u32 v7, vcc_lo, v15, v7
	v_add_co_ci_u32_e32 v8, vcc_lo, v16, v8, vcc_lo
	global_store_b32 v[7:8], v9, off
	s_branch .LBB15_15
.LBB15_61:
	s_nop 0
	s_sendmsg sendmsg(MSG_DEALLOC_VGPRS)
	s_endpgm
	.section	.rodata,"a",@progbits
	.p2align	6, 0x0
	.amdhsa_kernel _ZN9rocsparseL29bsrmm_general_blockdim_kernelILj32ELj32EiiaaiiEEvb20rocsparse_direction_T2_S2_llNS_24const_host_device_scalarIT6_EEPKT1_PKS2_PKT3_S2_PKT4_llS5_PT5_ll16rocsparse_order_21rocsparse_index_base_b
		.amdhsa_group_segment_fixed_size 8192
		.amdhsa_private_segment_fixed_size 0
		.amdhsa_kernarg_size 140
		.amdhsa_user_sgpr_count 14
		.amdhsa_user_sgpr_dispatch_ptr 0
		.amdhsa_user_sgpr_queue_ptr 0
		.amdhsa_user_sgpr_kernarg_segment_ptr 1
		.amdhsa_user_sgpr_dispatch_id 0
		.amdhsa_user_sgpr_private_segment_size 0
		.amdhsa_wavefront_size32 1
		.amdhsa_uses_dynamic_stack 0
		.amdhsa_enable_private_segment 0
		.amdhsa_system_sgpr_workgroup_id_x 1
		.amdhsa_system_sgpr_workgroup_id_y 1
		.amdhsa_system_sgpr_workgroup_id_z 0
		.amdhsa_system_sgpr_workgroup_info 0
		.amdhsa_system_vgpr_workitem_id 1
		.amdhsa_next_free_vgpr 74
		.amdhsa_next_free_sgpr 34
		.amdhsa_reserve_vcc 1
		.amdhsa_float_round_mode_32 0
		.amdhsa_float_round_mode_16_64 0
		.amdhsa_float_denorm_mode_32 3
		.amdhsa_float_denorm_mode_16_64 3
		.amdhsa_dx10_clamp 1
		.amdhsa_ieee_mode 1
		.amdhsa_fp16_overflow 0
		.amdhsa_workgroup_processor_mode 1
		.amdhsa_memory_ordered 1
		.amdhsa_forward_progress 0
		.amdhsa_shared_vgpr_count 0
		.amdhsa_exception_fp_ieee_invalid_op 0
		.amdhsa_exception_fp_denorm_src 0
		.amdhsa_exception_fp_ieee_div_zero 0
		.amdhsa_exception_fp_ieee_overflow 0
		.amdhsa_exception_fp_ieee_underflow 0
		.amdhsa_exception_fp_ieee_inexact 0
		.amdhsa_exception_int_div_zero 0
	.end_amdhsa_kernel
	.section	.text._ZN9rocsparseL29bsrmm_general_blockdim_kernelILj32ELj32EiiaaiiEEvb20rocsparse_direction_T2_S2_llNS_24const_host_device_scalarIT6_EEPKT1_PKS2_PKT3_S2_PKT4_llS5_PT5_ll16rocsparse_order_21rocsparse_index_base_b,"axG",@progbits,_ZN9rocsparseL29bsrmm_general_blockdim_kernelILj32ELj32EiiaaiiEEvb20rocsparse_direction_T2_S2_llNS_24const_host_device_scalarIT6_EEPKT1_PKS2_PKT3_S2_PKT4_llS5_PT5_ll16rocsparse_order_21rocsparse_index_base_b,comdat
.Lfunc_end15:
	.size	_ZN9rocsparseL29bsrmm_general_blockdim_kernelILj32ELj32EiiaaiiEEvb20rocsparse_direction_T2_S2_llNS_24const_host_device_scalarIT6_EEPKT1_PKS2_PKT3_S2_PKT4_llS5_PT5_ll16rocsparse_order_21rocsparse_index_base_b, .Lfunc_end15-_ZN9rocsparseL29bsrmm_general_blockdim_kernelILj32ELj32EiiaaiiEEvb20rocsparse_direction_T2_S2_llNS_24const_host_device_scalarIT6_EEPKT1_PKS2_PKT3_S2_PKT4_llS5_PT5_ll16rocsparse_order_21rocsparse_index_base_b
                                        ; -- End function
	.section	.AMDGPU.csdata,"",@progbits
; Kernel info:
; codeLenInByte = 2424
; NumSgprs: 36
; NumVgprs: 74
; ScratchSize: 0
; MemoryBound: 0
; FloatMode: 240
; IeeeMode: 1
; LDSByteSize: 8192 bytes/workgroup (compile time only)
; SGPRBlocks: 4
; VGPRBlocks: 9
; NumSGPRsForWavesPerEU: 36
; NumVGPRsForWavesPerEU: 74
; Occupancy: 16
; WaveLimiterHint : 0
; COMPUTE_PGM_RSRC2:SCRATCH_EN: 0
; COMPUTE_PGM_RSRC2:USER_SGPR: 14
; COMPUTE_PGM_RSRC2:TRAP_HANDLER: 0
; COMPUTE_PGM_RSRC2:TGID_X_EN: 1
; COMPUTE_PGM_RSRC2:TGID_Y_EN: 1
; COMPUTE_PGM_RSRC2:TGID_Z_EN: 0
; COMPUTE_PGM_RSRC2:TIDIG_COMP_CNT: 1
	.section	.text._ZN9rocsparseL29bsrmm_general_blockdim_kernelILj32ELj32EliaaiiEEvb20rocsparse_direction_T2_S2_llNS_24const_host_device_scalarIT6_EEPKT1_PKS2_PKT3_S2_PKT4_llS5_PT5_ll16rocsparse_order_21rocsparse_index_base_b,"axG",@progbits,_ZN9rocsparseL29bsrmm_general_blockdim_kernelILj32ELj32EliaaiiEEvb20rocsparse_direction_T2_S2_llNS_24const_host_device_scalarIT6_EEPKT1_PKS2_PKT3_S2_PKT4_llS5_PT5_ll16rocsparse_order_21rocsparse_index_base_b,comdat
	.globl	_ZN9rocsparseL29bsrmm_general_blockdim_kernelILj32ELj32EliaaiiEEvb20rocsparse_direction_T2_S2_llNS_24const_host_device_scalarIT6_EEPKT1_PKS2_PKT3_S2_PKT4_llS5_PT5_ll16rocsparse_order_21rocsparse_index_base_b ; -- Begin function _ZN9rocsparseL29bsrmm_general_blockdim_kernelILj32ELj32EliaaiiEEvb20rocsparse_direction_T2_S2_llNS_24const_host_device_scalarIT6_EEPKT1_PKS2_PKT3_S2_PKT4_llS5_PT5_ll16rocsparse_order_21rocsparse_index_base_b
	.p2align	8
	.type	_ZN9rocsparseL29bsrmm_general_blockdim_kernelILj32ELj32EliaaiiEEvb20rocsparse_direction_T2_S2_llNS_24const_host_device_scalarIT6_EEPKT1_PKS2_PKT3_S2_PKT4_llS5_PT5_ll16rocsparse_order_21rocsparse_index_base_b,@function
_ZN9rocsparseL29bsrmm_general_blockdim_kernelILj32ELj32EliaaiiEEvb20rocsparse_direction_T2_S2_llNS_24const_host_device_scalarIT6_EEPKT1_PKS2_PKT3_S2_PKT4_llS5_PT5_ll16rocsparse_order_21rocsparse_index_base_b: ; @_ZN9rocsparseL29bsrmm_general_blockdim_kernelILj32ELj32EliaaiiEEvb20rocsparse_direction_T2_S2_llNS_24const_host_device_scalarIT6_EEPKT1_PKS2_PKT3_S2_PKT4_llS5_PT5_ll16rocsparse_order_21rocsparse_index_base_b
; %bb.0:
	s_clause 0x1
	s_load_b128 s[4:7], s[0:1], 0x80
	s_load_b64 s[8:9], s[0:1], 0x20
	s_mov_b32 s2, s15
	s_mov_b32 s10, -1
                                        ; implicit-def: $sgpr28
	s_waitcnt lgkmcnt(0)
	s_bitcmp1_b32 s6, 0
	s_cselect_b32 s3, -1, 0
	s_delay_alu instid0(SALU_CYCLE_1) | instskip(NEXT) | instid1(SALU_CYCLE_1)
	s_xor_b32 s3, s3, -1
	s_and_b32 vcc_lo, exec_lo, s3
	s_cbranch_vccnz .LBB16_4
; %bb.1:
	s_load_b64 s[6:7], s[0:1], 0x60
	s_and_not1_b32 vcc_lo, exec_lo, s10
	s_cbranch_vccz .LBB16_5
.LBB16_2:
	s_and_b32 vcc_lo, exec_lo, s3
	s_cbranch_vccz .LBB16_6
.LBB16_3:
	s_waitcnt lgkmcnt(0)
	s_load_b32 s29, s[6:7], 0x0
	s_cbranch_execz .LBB16_7
	s_branch .LBB16_8
.LBB16_4:
	s_load_b32 s28, s[8:9], 0x0
	s_load_b64 s[6:7], s[0:1], 0x60
	s_cbranch_execnz .LBB16_2
.LBB16_5:
	s_waitcnt lgkmcnt(0)
	s_mov_b32 s28, s8
	s_and_b32 vcc_lo, exec_lo, s3
	s_cbranch_vccnz .LBB16_3
.LBB16_6:
                                        ; implicit-def: $sgpr29
.LBB16_7:
	s_waitcnt lgkmcnt(0)
	s_mov_b32 s29, s6
.LBB16_8:
	s_waitcnt lgkmcnt(0)
	s_cmp_eq_u32 s28, 0
	s_cselect_b32 s3, -1, 0
	s_cmp_eq_u32 s29, 1
	s_cselect_b32 s6, -1, 0
	s_delay_alu instid0(SALU_CYCLE_1) | instskip(NEXT) | instid1(SALU_CYCLE_1)
	s_and_b32 s3, s3, s6
	s_and_b32 vcc_lo, exec_lo, s3
	s_cbranch_vccnz .LBB16_57
; %bb.9:
	s_clause 0x1
	s_load_b128 s[24:27], s[0:1], 0x0
	s_load_b64 s[8:9], s[0:1], 0x28
	s_mov_b64 s[6:7], 0
	s_mov_b64 s[12:13], 0
	s_waitcnt lgkmcnt(0)
	s_cmp_lt_i32 s14, s26
	s_cselect_b32 s3, -1, 0
	s_cmp_ge_i32 s14, s26
	s_cbranch_scc0 .LBB16_12
; %bb.10:
	s_and_not1_b32 vcc_lo, exec_lo, s3
	s_cbranch_vccz .LBB16_13
.LBB16_11:
	s_load_b32 s15, s[0:1], 0x40
	s_waitcnt lgkmcnt(0)
	s_cmp_lt_i32 s15, 1
	s_cbranch_scc0 .LBB16_14
	s_branch .LBB16_57
.LBB16_12:
	s_ashr_i32 s15, s14, 31
	s_delay_alu instid0(SALU_CYCLE_1) | instskip(NEXT) | instid1(SALU_CYCLE_1)
	s_lshl_b64 s[10:11], s[14:15], 3
	s_add_u32 s10, s8, s10
	s_addc_u32 s11, s9, s11
	s_load_b64 s[10:11], s[10:11], 0x0
	s_waitcnt lgkmcnt(0)
	s_sub_u32 s12, s10, s5
	s_subb_u32 s13, s11, 0
	s_and_not1_b32 vcc_lo, exec_lo, s3
	s_cbranch_vccnz .LBB16_11
.LBB16_13:
	s_ashr_i32 s15, s14, 31
	s_delay_alu instid0(SALU_CYCLE_1) | instskip(NEXT) | instid1(SALU_CYCLE_1)
	s_lshl_b64 s[6:7], s[14:15], 3
	s_add_u32 s6, s8, s6
	s_addc_u32 s7, s9, s7
	s_load_b64 s[6:7], s[6:7], 0x8
	s_waitcnt lgkmcnt(0)
	s_sub_u32 s6, s6, s5
	s_subb_u32 s7, s7, 0
	s_load_b32 s15, s[0:1], 0x40
	s_waitcnt lgkmcnt(0)
	s_cmp_lt_i32 s15, 1
	s_cbranch_scc1 .LBB16_57
.LBB16_14:
	s_clause 0x1
	s_load_b128 s[8:11], s[0:1], 0x48
	s_load_b128 s[16:19], s[0:1], 0x68
	v_bfe_u32 v8, v0, 10, 10
	v_and_b32_e32 v0, 0x3ff, v0
	s_load_b128 s[20:23], s[0:1], 0x30
	s_bitcmp1_b32 s24, 0
	s_mul_i32 s14, s14, s15
	v_lshl_add_u32 v5, s2, 5, v8
	v_lshlrev_b32_e32 v1, 5, v8
	s_cselect_b32 s0, -1, 0
	v_lshl_add_u32 v16, v8, 7, 0x1000
	s_xor_b32 s24, s0, -1
	v_ashrrev_i32_e32 v6, 31, v5
	v_add_lshl_u32 v9, v1, v0, 2
	v_cmp_gt_i32_e64 s0, s27, v5
	s_cmp_lg_u32 s25, 0
	s_mov_b32 s25, 0
	s_delay_alu instid0(VALU_DEP_2)
	v_add_nc_u32_e32 v10, 0x1000, v9
	s_waitcnt lgkmcnt(0)
	v_mul_lo_u32 v7, v6, s10
	v_mul_lo_u32 v14, v6, s18
	;; [unrolled: 1-line block ×3, first 2 shown]
	v_mad_u64_u32 v[11:12], null, v5, s18, 0
	v_mul_lo_u32 v13, v5, s11
	v_mad_u64_u32 v[1:2], null, v5, s10, s[8:9]
	v_add_co_u32 v3, vcc_lo, s8, v5
	v_add_co_ci_u32_e32 v4, vcc_lo, s9, v6, vcc_lo
	v_add3_u32 v12, v12, v15, v14
	v_lshlrev_b64 v[5:6], 2, v[5:6]
	v_add3_u32 v2, v7, v2, v13
	v_lshlrev_b32_e32 v13, 2, v0
	s_cselect_b32 s8, -1, 0
	v_lshlrev_b64 v[14:15], 2, v[11:12]
	s_and_b32 s9, s3, s0
	v_add_co_u32 v11, vcc_lo, s16, v5
	v_add_co_ci_u32_e32 v12, vcc_lo, s17, v6, vcc_lo
	s_delay_alu instid0(VALU_DEP_3)
	v_add_co_u32 v14, vcc_lo, s16, v14
	s_cmp_lg_u32 s29, 0
	v_cmp_lt_i64_e64 s16, s[12:13], s[6:7]
	v_add_co_ci_u32_e32 v15, vcc_lo, s17, v15, vcc_lo
	v_add_nc_u32_e32 v17, 0x400, v13
	v_add_nc_u32_e32 v18, 0x800, v13
	;; [unrolled: 1-line block ×3, first 2 shown]
	s_cselect_b32 s26, -1, 0
	s_cmp_lg_u32 s4, 1
	s_mul_i32 s4, s15, s15
	s_cselect_b32 s17, -1, 0
	s_branch .LBB16_16
.LBB16_15:                              ;   in Loop: Header=BB16_16 Depth=1
	s_or_b32 exec_lo, exec_lo, s1
	s_add_i32 s25, s25, 32
	s_delay_alu instid0(SALU_CYCLE_1)
	s_cmp_lt_i32 s25, s15
	s_cbranch_scc0 .LBB16_57
.LBB16_16:                              ; =>This Loop Header: Depth=1
                                        ;     Child Loop BB16_19 Depth 2
                                        ;       Child Loop BB16_21 Depth 3
	v_dual_mov_b32 v20, 0 :: v_dual_add_nc_u32 v21, s25, v0
	s_and_not1_b32 vcc_lo, exec_lo, s16
	s_delay_alu instid0(VALU_DEP_1)
	v_cmp_gt_i32_e64 s1, s15, v21
	s_cbranch_vccnz .LBB16_45
; %bb.17:                               ;   in Loop: Header=BB16_16 Depth=1
	v_mul_lo_u32 v22, v21, s15
	v_mov_b32_e32 v20, 0
	s_mov_b64 s[2:3], s[12:13]
	s_branch .LBB16_19
.LBB16_18:                              ;   in Loop: Header=BB16_19 Depth=2
	s_add_u32 s2, s2, 1
	s_addc_u32 s3, s3, 0
	s_delay_alu instid0(SALU_CYCLE_1) | instskip(NEXT) | instid1(VALU_DEP_1)
	v_cmp_ge_i64_e64 s27, s[2:3], s[6:7]
	s_and_b32 vcc_lo, exec_lo, s27
	s_cbranch_vccnz .LBB16_45
.LBB16_19:                              ;   Parent Loop BB16_16 Depth=1
                                        ; =>  This Loop Header: Depth=2
                                        ;       Child Loop BB16_21 Depth 3
	s_lshl_b64 s[30:31], s[2:3], 2
	s_delay_alu instid0(SALU_CYCLE_1)
	s_add_u32 s30, s20, s30
	s_addc_u32 s31, s21, s31
	s_load_b32 s27, s[30:31], 0x0
	s_mul_i32 s30, s3, s4
	s_mul_i32 s31, s2, s4
	s_waitcnt lgkmcnt(0)
	s_sub_i32 s27, s27, s5
	s_delay_alu instid0(SALU_CYCLE_1) | instskip(SKIP_1) | instid1(SALU_CYCLE_1)
	v_mad_u64_u32 v[5:6], null, s27, s15, v[0:1]
	s_mul_hi_u32 s27, s2, s4
	s_add_i32 s30, s27, s30
	s_add_u32 s27, s22, s31
	s_addc_u32 s30, s23, s30
	s_mov_b32 s31, 0
	s_branch .LBB16_21
.LBB16_20:                              ;   in Loop: Header=BB16_21 Depth=3
	s_or_b32 exec_lo, exec_lo, s33
	s_waitcnt vmcnt(0)
	ds_store_b32 v9, v23
	s_waitcnt lgkmcnt(0)
	s_waitcnt_vscnt null, 0x0
	s_barrier
	buffer_gl0_inv
	ds_load_2addr_b32 v[6:7], v13 offset0:64 offset1:96
	ds_load_b128 v[23:26], v16
	ds_load_2addr_b32 v[54:55], v13 offset1:32
	ds_load_b128 v[27:30], v16 offset:16
	ds_load_2addr_b32 v[43:44], v13 offset0:192 offset1:224
	ds_load_2addr_b32 v[56:57], v13 offset0:128 offset1:160
	ds_load_2addr_b32 v[47:48], v17 offset0:64 offset1:96
	ds_load_b128 v[31:34], v16 offset:32
	ds_load_2addr_b32 v[58:59], v17 offset1:32
	ds_load_b128 v[35:38], v16 offset:48
	ds_load_2addr_b32 v[49:50], v17 offset0:192 offset1:224
	ds_load_2addr_b32 v[60:61], v17 offset0:128 offset1:160
	;; [unrolled: 1-line block ×3, first 2 shown]
	ds_load_b128 v[39:42], v16 offset:64
	ds_load_2addr_b32 v[62:63], v18 offset1:32
	s_add_i32 s31, s31, 32
	s_delay_alu instid0(SALU_CYCLE_1)
	s_cmp_ge_i32 s31, s15
	s_waitcnt lgkmcnt(13)
	v_mul_lo_u32 v66, v25, v6
	v_mul_lo_u32 v6, v26, v7
	s_waitcnt lgkmcnt(12)
	v_mul_lo_u32 v67, v23, v54
	s_waitcnt lgkmcnt(10)
	v_mul_lo_u32 v68, v29, v43
	v_mul_lo_u32 v7, v30, v44
	ds_load_2addr_b32 v[25:26], v18 offset0:192 offset1:224
	ds_load_b128 v[43:46], v16 offset:80
	ds_load_2addr_b32 v[29:30], v18 offset0:128 offset1:160
	s_waitcnt lgkmcnt(12)
	v_mul_lo_u32 v69, v27, v56
	s_waitcnt lgkmcnt(10)
	v_mul_lo_u32 v70, v33, v47
	;; [unrolled: 2-line block ×3, first 2 shown]
	v_mul_lo_u32 v23, v34, v48
	s_waitcnt lgkmcnt(7)
	v_mul_lo_u32 v71, v37, v49
	v_mul_lo_u32 v27, v38, v50
	s_waitcnt lgkmcnt(4)
	v_mul_lo_u32 v72, v41, v51
	v_mul_lo_u32 v31, v42, v52
	ds_load_2addr_b32 v[33:34], v19 offset1:32
	ds_load_2addr_b32 v[37:38], v19 offset0:64 offset1:96
	ds_load_b128 v[47:50], v16 offset:96
	ds_load_2addr_b32 v[41:42], v19 offset0:192 offset1:224
	ds_load_b128 v[51:54], v16 offset:112
	v_mad_u64_u32 v[64:65], null, v24, v55, v[6:7]
	v_mad_u64_u32 v[55:56], null, v28, v57, v[7:8]
	v_mul_lo_u32 v60, v35, v60
	s_waitcnt lgkmcnt(8)
	v_mul_lo_u32 v39, v39, v62
	s_waitcnt lgkmcnt(6)
	v_mul_lo_u32 v45, v45, v25
	v_mad_u64_u32 v[24:25], null, v32, v59, v[23:24]
	v_add3_u32 v32, v67, v66, v64
	v_mul_lo_u32 v6, v46, v26
	ds_load_2addr_b32 v[25:26], v19 offset0:128 offset1:160
	s_waitcnt lgkmcnt(6)
	v_mul_lo_u32 v43, v43, v29
	v_mad_u64_u32 v[28:29], null, v36, v61, v[27:28]
	v_mad_u64_u32 v[35:36], null, v40, v63, v[31:32]
	v_add3_u32 v46, v69, v68, v55
	v_add3_u32 v24, v58, v70, v24
	s_waitcnt lgkmcnt(3)
	v_mul_lo_u32 v7, v50, v38
	s_waitcnt lgkmcnt(1)
	v_mul_lo_u32 v23, v54, v42
	v_mul_lo_u32 v31, v49, v37
	;; [unrolled: 1-line block ×3, first 2 shown]
	v_add3_u32 v24, v32, v46, v24
	v_add3_u32 v32, v60, v71, v28
	;; [unrolled: 1-line block ×3, first 2 shown]
	s_waitcnt lgkmcnt(0)
	v_mad_u64_u32 v[27:28], null, v44, v30, v[6:7]
	v_mad_u64_u32 v[28:29], null, v48, v34, v[7:8]
	s_delay_alu instid0(VALU_DEP_3)
	v_add3_u32 v24, v24, v32, v35
	v_mul_lo_u32 v29, v53, v41
	v_mul_lo_u32 v25, v51, v25
	s_barrier
	buffer_gl0_inv
	v_mad_u64_u32 v[6:7], null, v52, v26, v[23:24]
	v_add3_u32 v7, v43, v45, v27
	v_add3_u32 v23, v33, v31, v28
	s_delay_alu instid0(VALU_DEP_1) | instskip(NEXT) | instid1(VALU_DEP_4)
	v_add3_u32 v7, v24, v7, v23
	v_add3_u32 v6, v25, v29, v6
	s_delay_alu instid0(VALU_DEP_1)
	v_add3_u32 v20, v7, v6, v20
	s_cbranch_scc1 .LBB16_18
.LBB16_21:                              ;   Parent Loop BB16_16 Depth=1
                                        ;     Parent Loop BB16_19 Depth=2
                                        ; =>    This Inner Loop Header: Depth=3
	s_and_b32 vcc_lo, exec_lo, s24
	s_cbranch_vccz .LBB16_27
; %bb.22:                               ;   in Loop: Header=BB16_21 Depth=3
	s_mov_b32 s34, 0
	s_mov_b32 s33, 0
                                        ; implicit-def: $vgpr6_vgpr7
	s_and_saveexec_b32 s35, s0
	s_cbranch_execz .LBB16_26
; %bb.23:                               ;   in Loop: Header=BB16_21 Depth=3
	v_add_nc_u32_e32 v6, s31, v0
	s_delay_alu instid0(VALU_DEP_1) | instskip(SKIP_1) | instid1(SALU_CYCLE_1)
	v_cmp_gt_i32_e32 vcc_lo, s15, v6
                                        ; implicit-def: $vgpr6_vgpr7
	s_and_saveexec_b32 s36, vcc_lo
	s_xor_b32 s36, exec_lo, s36
; %bb.24:                               ;   in Loop: Header=BB16_21 Depth=3
	v_add_nc_u32_e32 v23, s31, v5
	s_mov_b32 s33, exec_lo
	s_delay_alu instid0(VALU_DEP_1) | instskip(SKIP_1) | instid1(VALU_DEP_2)
	v_ashrrev_i32_e32 v6, 31, v23
	v_mul_lo_u32 v24, v23, s11
	v_mul_lo_u32 v25, v6, s10
	v_mad_u64_u32 v[6:7], null, v23, s10, v[3:4]
	s_delay_alu instid0(VALU_DEP_1)
	v_add3_u32 v7, v25, v7, v24
; %bb.25:                               ;   in Loop: Header=BB16_21 Depth=3
	s_or_b32 exec_lo, exec_lo, s36
	s_delay_alu instid0(SALU_CYCLE_1)
	s_and_b32 s33, s33, exec_lo
.LBB16_26:                              ;   in Loop: Header=BB16_21 Depth=3
	s_or_b32 exec_lo, exec_lo, s35
	s_delay_alu instid0(SALU_CYCLE_1)
	s_and_b32 vcc_lo, exec_lo, s34
	s_cbranch_vccnz .LBB16_28
	s_branch .LBB16_33
.LBB16_27:                              ;   in Loop: Header=BB16_21 Depth=3
	s_mov_b32 s34, -1
	s_mov_b32 s33, 0
                                        ; implicit-def: $vgpr6_vgpr7
	s_cbranch_execz .LBB16_33
.LBB16_28:                              ;   in Loop: Header=BB16_21 Depth=3
                                        ; implicit-def: $vgpr6_vgpr7
	s_and_saveexec_b32 s34, s0
	s_cbranch_execz .LBB16_32
; %bb.29:                               ;   in Loop: Header=BB16_21 Depth=3
	v_add_nc_u32_e32 v6, s31, v0
	s_mov_b32 s36, s33
	s_delay_alu instid0(VALU_DEP_1)
	v_cmp_gt_i32_e32 vcc_lo, s15, v6
                                        ; implicit-def: $vgpr6_vgpr7
	s_and_saveexec_b32 s35, vcc_lo
; %bb.30:                               ;   in Loop: Header=BB16_21 Depth=3
	v_add_nc_u32_e32 v6, s31, v5
	s_or_b32 s36, s33, exec_lo
	s_delay_alu instid0(VALU_DEP_1) | instskip(SKIP_1) | instid1(VALU_DEP_2)
	v_ashrrev_i32_e32 v7, 31, v6
	v_add_co_u32 v6, vcc_lo, v1, v6
	v_add_co_ci_u32_e32 v7, vcc_lo, v2, v7, vcc_lo
; %bb.31:                               ;   in Loop: Header=BB16_21 Depth=3
	s_or_b32 exec_lo, exec_lo, s35
	s_delay_alu instid0(SALU_CYCLE_1) | instskip(SKIP_1) | instid1(SALU_CYCLE_1)
	s_and_not1_b32 s33, s33, exec_lo
	s_and_b32 s35, s36, exec_lo
	s_or_b32 s33, s33, s35
.LBB16_32:                              ;   in Loop: Header=BB16_21 Depth=3
	s_or_b32 exec_lo, exec_lo, s34
	s_mov_b32 s34, 0
.LBB16_33:                              ;   in Loop: Header=BB16_21 Depth=3
	s_delay_alu instid0(SALU_CYCLE_1)
	v_mov_b32_e32 v23, s34
	s_and_saveexec_b32 s34, s33
	s_cbranch_execnz .LBB16_43
; %bb.34:                               ;   in Loop: Header=BB16_21 Depth=3
	s_or_b32 exec_lo, exec_lo, s34
	s_delay_alu instid0(SALU_CYCLE_1)
	s_and_b32 vcc_lo, exec_lo, s8
	ds_store_b32 v10, v23
	s_cbranch_vccz .LBB16_44
.LBB16_35:                              ;   in Loop: Header=BB16_21 Depth=3
	s_mov_b32 s33, 0
	s_mov_b32 s34, 0
                                        ; implicit-def: $vgpr6
	s_and_saveexec_b32 s35, s1
	s_cbranch_execz .LBB16_39
; %bb.36:                               ;   in Loop: Header=BB16_21 Depth=3
	v_add_nc_u32_e32 v7, s31, v8
	s_mov_b32 s36, exec_lo
                                        ; implicit-def: $vgpr6
	s_delay_alu instid0(VALU_DEP_1)
	v_cmpx_gt_i32_e64 s15, v7
	s_xor_b32 s36, exec_lo, s36
; %bb.37:                               ;   in Loop: Header=BB16_21 Depth=3
	s_mov_b32 s34, exec_lo
	v_mul_lo_u32 v6, v7, s15
; %bb.38:                               ;   in Loop: Header=BB16_21 Depth=3
	s_or_b32 exec_lo, exec_lo, s36
	s_delay_alu instid0(SALU_CYCLE_1)
	s_and_b32 s34, s34, exec_lo
.LBB16_39:                              ;   in Loop: Header=BB16_21 Depth=3
	s_or_b32 exec_lo, exec_lo, s35
	v_mov_b32_e32 v7, v21
	s_and_b32 vcc_lo, exec_lo, s33
	s_cbranch_vccz .LBB16_41
.LBB16_40:                              ;   in Loop: Header=BB16_21 Depth=3
	v_dual_mov_b32 v7, v22 :: v_dual_add_nc_u32 v6, s31, v8
	s_and_not1_b32 s34, s34, exec_lo
	s_delay_alu instid0(VALU_DEP_1) | instskip(SKIP_1) | instid1(SALU_CYCLE_1)
	v_cmp_gt_i32_e32 vcc_lo, s15, v6
	s_and_b32 s33, s1, vcc_lo
	s_and_b32 s35, s33, exec_lo
	s_mov_b32 s33, 0
	s_or_b32 s34, s34, s35
.LBB16_41:                              ;   in Loop: Header=BB16_21 Depth=3
	v_mov_b32_e32 v23, s33
	s_and_saveexec_b32 s33, s34
	s_cbranch_execz .LBB16_20
; %bb.42:                               ;   in Loop: Header=BB16_21 Depth=3
	v_ashrrev_i32_e32 v23, 31, v7
	v_add_co_u32 v7, vcc_lo, s27, v7
	v_ashrrev_i32_e32 v24, 31, v6
	s_delay_alu instid0(VALU_DEP_3) | instskip(NEXT) | instid1(VALU_DEP_3)
	v_add_co_ci_u32_e32 v23, vcc_lo, s30, v23, vcc_lo
	v_add_co_u32 v6, vcc_lo, v7, v6
	s_delay_alu instid0(VALU_DEP_2)
	v_add_co_ci_u32_e32 v7, vcc_lo, v23, v24, vcc_lo
	global_load_i8 v23, v[6:7], off
	s_branch .LBB16_20
.LBB16_43:                              ;   in Loop: Header=BB16_21 Depth=3
	global_load_i8 v23, v[6:7], off
	s_or_b32 exec_lo, exec_lo, s34
	s_delay_alu instid0(SALU_CYCLE_1)
	s_and_b32 vcc_lo, exec_lo, s8
	s_waitcnt vmcnt(0)
	ds_store_b32 v10, v23
	s_cbranch_vccnz .LBB16_35
.LBB16_44:                              ;   in Loop: Header=BB16_21 Depth=3
	s_mov_b32 s33, -1
	s_mov_b32 s34, 0
                                        ; implicit-def: $vgpr7
                                        ; implicit-def: $vgpr6
	s_cbranch_execnz .LBB16_40
	s_branch .LBB16_41
.LBB16_45:                              ;   in Loop: Header=BB16_16 Depth=1
	v_cmp_gt_i32_e32 vcc_lo, s15, v21
	s_and_b32 s2, s9, vcc_lo
	s_delay_alu instid0(SALU_CYCLE_1)
	s_and_saveexec_b32 s1, s2
	s_cbranch_execz .LBB16_15
; %bb.46:                               ;   in Loop: Header=BB16_16 Depth=1
	v_add_nc_u32_e32 v5, s14, v21
	s_and_b32 vcc_lo, exec_lo, s26
	s_delay_alu instid0(VALU_DEP_1)
	v_ashrrev_i32_e32 v6, 31, v5
	s_cbranch_vccz .LBB16_52
; %bb.47:                               ;   in Loop: Header=BB16_16 Depth=1
	s_and_b32 vcc_lo, exec_lo, s17
	s_mov_b32 s2, -1
	s_cbranch_vccz .LBB16_49
; %bb.48:                               ;   in Loop: Header=BB16_16 Depth=1
	v_mul_lo_u32 v7, v6, s18
	v_mul_lo_u32 v23, v5, s19
	v_mad_u64_u32 v[21:22], null, v5, s18, 0
	s_mov_b32 s2, 0
	s_delay_alu instid0(VALU_DEP_1) | instskip(SKIP_1) | instid1(VALU_DEP_2)
	v_add3_u32 v22, v22, v23, v7
	v_mul_lo_u32 v7, v20, s28
	v_lshlrev_b64 v[21:22], 2, v[21:22]
	s_delay_alu instid0(VALU_DEP_1) | instskip(NEXT) | instid1(VALU_DEP_2)
	v_add_co_u32 v21, vcc_lo, v11, v21
	v_add_co_ci_u32_e32 v22, vcc_lo, v12, v22, vcc_lo
	global_load_b32 v25, v[21:22], off
	s_waitcnt vmcnt(0)
	v_mad_u64_u32 v[23:24], null, v25, s29, v[7:8]
	global_store_b32 v[21:22], v23, off
.LBB16_49:                              ;   in Loop: Header=BB16_16 Depth=1
	s_and_not1_b32 vcc_lo, exec_lo, s2
	s_cbranch_vccnz .LBB16_51
; %bb.50:                               ;   in Loop: Header=BB16_16 Depth=1
	v_lshlrev_b64 v[21:22], 2, v[5:6]
	v_mul_lo_u32 v7, v20, s28
	s_delay_alu instid0(VALU_DEP_2) | instskip(NEXT) | instid1(VALU_DEP_3)
	v_add_co_u32 v21, vcc_lo, v14, v21
	v_add_co_ci_u32_e32 v22, vcc_lo, v15, v22, vcc_lo
	global_load_b32 v25, v[21:22], off
	s_waitcnt vmcnt(0)
	v_mad_u64_u32 v[23:24], null, v25, s29, v[7:8]
	global_store_b32 v[21:22], v23, off
.LBB16_51:                              ;   in Loop: Header=BB16_16 Depth=1
	s_cbranch_execnz .LBB16_15
	s_branch .LBB16_53
.LBB16_52:                              ;   in Loop: Header=BB16_16 Depth=1
.LBB16_53:                              ;   in Loop: Header=BB16_16 Depth=1
	v_mul_lo_u32 v7, v20, s28
	s_and_b32 vcc_lo, exec_lo, s17
	s_mov_b32 s2, -1
	s_cbranch_vccz .LBB16_55
; %bb.54:                               ;   in Loop: Header=BB16_16 Depth=1
	v_mul_lo_u32 v22, v6, s18
	v_mul_lo_u32 v23, v5, s19
	v_mad_u64_u32 v[20:21], null, v5, s18, 0
	s_mov_b32 s2, 0
	s_delay_alu instid0(VALU_DEP_1) | instskip(NEXT) | instid1(VALU_DEP_1)
	v_add3_u32 v21, v21, v23, v22
	v_lshlrev_b64 v[20:21], 2, v[20:21]
	s_delay_alu instid0(VALU_DEP_1) | instskip(NEXT) | instid1(VALU_DEP_2)
	v_add_co_u32 v20, vcc_lo, v11, v20
	v_add_co_ci_u32_e32 v21, vcc_lo, v12, v21, vcc_lo
	global_store_b32 v[20:21], v7, off
.LBB16_55:                              ;   in Loop: Header=BB16_16 Depth=1
	s_and_not1_b32 vcc_lo, exec_lo, s2
	s_cbranch_vccnz .LBB16_15
; %bb.56:                               ;   in Loop: Header=BB16_16 Depth=1
	v_lshlrev_b64 v[5:6], 2, v[5:6]
	s_delay_alu instid0(VALU_DEP_1) | instskip(NEXT) | instid1(VALU_DEP_2)
	v_add_co_u32 v5, vcc_lo, v14, v5
	v_add_co_ci_u32_e32 v6, vcc_lo, v15, v6, vcc_lo
	global_store_b32 v[5:6], v7, off
	s_branch .LBB16_15
.LBB16_57:
	s_nop 0
	s_sendmsg sendmsg(MSG_DEALLOC_VGPRS)
	s_endpgm
	.section	.rodata,"a",@progbits
	.p2align	6, 0x0
	.amdhsa_kernel _ZN9rocsparseL29bsrmm_general_blockdim_kernelILj32ELj32EliaaiiEEvb20rocsparse_direction_T2_S2_llNS_24const_host_device_scalarIT6_EEPKT1_PKS2_PKT3_S2_PKT4_llS5_PT5_ll16rocsparse_order_21rocsparse_index_base_b
		.amdhsa_group_segment_fixed_size 8192
		.amdhsa_private_segment_fixed_size 0
		.amdhsa_kernarg_size 140
		.amdhsa_user_sgpr_count 14
		.amdhsa_user_sgpr_dispatch_ptr 0
		.amdhsa_user_sgpr_queue_ptr 0
		.amdhsa_user_sgpr_kernarg_segment_ptr 1
		.amdhsa_user_sgpr_dispatch_id 0
		.amdhsa_user_sgpr_private_segment_size 0
		.amdhsa_wavefront_size32 1
		.amdhsa_uses_dynamic_stack 0
		.amdhsa_enable_private_segment 0
		.amdhsa_system_sgpr_workgroup_id_x 1
		.amdhsa_system_sgpr_workgroup_id_y 1
		.amdhsa_system_sgpr_workgroup_id_z 0
		.amdhsa_system_sgpr_workgroup_info 0
		.amdhsa_system_vgpr_workitem_id 1
		.amdhsa_next_free_vgpr 73
		.amdhsa_next_free_sgpr 37
		.amdhsa_reserve_vcc 1
		.amdhsa_float_round_mode_32 0
		.amdhsa_float_round_mode_16_64 0
		.amdhsa_float_denorm_mode_32 3
		.amdhsa_float_denorm_mode_16_64 3
		.amdhsa_dx10_clamp 1
		.amdhsa_ieee_mode 1
		.amdhsa_fp16_overflow 0
		.amdhsa_workgroup_processor_mode 1
		.amdhsa_memory_ordered 1
		.amdhsa_forward_progress 0
		.amdhsa_shared_vgpr_count 0
		.amdhsa_exception_fp_ieee_invalid_op 0
		.amdhsa_exception_fp_denorm_src 0
		.amdhsa_exception_fp_ieee_div_zero 0
		.amdhsa_exception_fp_ieee_overflow 0
		.amdhsa_exception_fp_ieee_underflow 0
		.amdhsa_exception_fp_ieee_inexact 0
		.amdhsa_exception_int_div_zero 0
	.end_amdhsa_kernel
	.section	.text._ZN9rocsparseL29bsrmm_general_blockdim_kernelILj32ELj32EliaaiiEEvb20rocsparse_direction_T2_S2_llNS_24const_host_device_scalarIT6_EEPKT1_PKS2_PKT3_S2_PKT4_llS5_PT5_ll16rocsparse_order_21rocsparse_index_base_b,"axG",@progbits,_ZN9rocsparseL29bsrmm_general_blockdim_kernelILj32ELj32EliaaiiEEvb20rocsparse_direction_T2_S2_llNS_24const_host_device_scalarIT6_EEPKT1_PKS2_PKT3_S2_PKT4_llS5_PT5_ll16rocsparse_order_21rocsparse_index_base_b,comdat
.Lfunc_end16:
	.size	_ZN9rocsparseL29bsrmm_general_blockdim_kernelILj32ELj32EliaaiiEEvb20rocsparse_direction_T2_S2_llNS_24const_host_device_scalarIT6_EEPKT1_PKS2_PKT3_S2_PKT4_llS5_PT5_ll16rocsparse_order_21rocsparse_index_base_b, .Lfunc_end16-_ZN9rocsparseL29bsrmm_general_blockdim_kernelILj32ELj32EliaaiiEEvb20rocsparse_direction_T2_S2_llNS_24const_host_device_scalarIT6_EEPKT1_PKS2_PKT3_S2_PKT4_llS5_PT5_ll16rocsparse_order_21rocsparse_index_base_b
                                        ; -- End function
	.section	.AMDGPU.csdata,"",@progbits
; Kernel info:
; codeLenInByte = 2404
; NumSgprs: 39
; NumVgprs: 73
; ScratchSize: 0
; MemoryBound: 0
; FloatMode: 240
; IeeeMode: 1
; LDSByteSize: 8192 bytes/workgroup (compile time only)
; SGPRBlocks: 4
; VGPRBlocks: 9
; NumSGPRsForWavesPerEU: 39
; NumVGPRsForWavesPerEU: 73
; Occupancy: 16
; WaveLimiterHint : 0
; COMPUTE_PGM_RSRC2:SCRATCH_EN: 0
; COMPUTE_PGM_RSRC2:USER_SGPR: 14
; COMPUTE_PGM_RSRC2:TRAP_HANDLER: 0
; COMPUTE_PGM_RSRC2:TGID_X_EN: 1
; COMPUTE_PGM_RSRC2:TGID_Y_EN: 1
; COMPUTE_PGM_RSRC2:TGID_Z_EN: 0
; COMPUTE_PGM_RSRC2:TIDIG_COMP_CNT: 1
	.section	.text._ZN9rocsparseL29bsrmm_general_blockdim_kernelILj32ELj32EllaaiiEEvb20rocsparse_direction_T2_S2_llNS_24const_host_device_scalarIT6_EEPKT1_PKS2_PKT3_S2_PKT4_llS5_PT5_ll16rocsparse_order_21rocsparse_index_base_b,"axG",@progbits,_ZN9rocsparseL29bsrmm_general_blockdim_kernelILj32ELj32EllaaiiEEvb20rocsparse_direction_T2_S2_llNS_24const_host_device_scalarIT6_EEPKT1_PKS2_PKT3_S2_PKT4_llS5_PT5_ll16rocsparse_order_21rocsparse_index_base_b,comdat
	.globl	_ZN9rocsparseL29bsrmm_general_blockdim_kernelILj32ELj32EllaaiiEEvb20rocsparse_direction_T2_S2_llNS_24const_host_device_scalarIT6_EEPKT1_PKS2_PKT3_S2_PKT4_llS5_PT5_ll16rocsparse_order_21rocsparse_index_base_b ; -- Begin function _ZN9rocsparseL29bsrmm_general_blockdim_kernelILj32ELj32EllaaiiEEvb20rocsparse_direction_T2_S2_llNS_24const_host_device_scalarIT6_EEPKT1_PKS2_PKT3_S2_PKT4_llS5_PT5_ll16rocsparse_order_21rocsparse_index_base_b
	.p2align	8
	.type	_ZN9rocsparseL29bsrmm_general_blockdim_kernelILj32ELj32EllaaiiEEvb20rocsparse_direction_T2_S2_llNS_24const_host_device_scalarIT6_EEPKT1_PKS2_PKT3_S2_PKT4_llS5_PT5_ll16rocsparse_order_21rocsparse_index_base_b,@function
_ZN9rocsparseL29bsrmm_general_blockdim_kernelILj32ELj32EllaaiiEEvb20rocsparse_direction_T2_S2_llNS_24const_host_device_scalarIT6_EEPKT1_PKS2_PKT3_S2_PKT4_llS5_PT5_ll16rocsparse_order_21rocsparse_index_base_b: ; @_ZN9rocsparseL29bsrmm_general_blockdim_kernelILj32ELj32EllaaiiEEvb20rocsparse_direction_T2_S2_llNS_24const_host_device_scalarIT6_EEPKT1_PKS2_PKT3_S2_PKT4_llS5_PT5_ll16rocsparse_order_21rocsparse_index_base_b
; %bb.0:
	s_clause 0x1
	s_load_b128 s[20:23], s[0:1], 0x88
	s_load_b64 s[6:7], s[0:1], 0x28
	s_mov_b32 s2, s15
	s_mov_b32 s8, -1
                                        ; implicit-def: $sgpr28
	s_waitcnt lgkmcnt(0)
	s_bitcmp1_b32 s22, 0
	s_cselect_b32 s3, -1, 0
	s_delay_alu instid0(SALU_CYCLE_1) | instskip(NEXT) | instid1(SALU_CYCLE_1)
	s_xor_b32 s3, s3, -1
	s_and_b32 vcc_lo, exec_lo, s3
	s_cbranch_vccnz .LBB17_4
; %bb.1:
	s_load_b64 s[4:5], s[0:1], 0x68
	s_and_not1_b32 vcc_lo, exec_lo, s8
	s_cbranch_vccz .LBB17_5
.LBB17_2:
	s_and_b32 vcc_lo, exec_lo, s3
	s_cbranch_vccz .LBB17_6
.LBB17_3:
	s_waitcnt lgkmcnt(0)
	s_load_b32 s29, s[4:5], 0x0
	s_cbranch_execz .LBB17_7
	s_branch .LBB17_8
.LBB17_4:
	s_load_b32 s28, s[6:7], 0x0
	s_load_b64 s[4:5], s[0:1], 0x68
	s_cbranch_execnz .LBB17_2
.LBB17_5:
	s_waitcnt lgkmcnt(0)
	s_mov_b32 s28, s6
	s_and_b32 vcc_lo, exec_lo, s3
	s_cbranch_vccnz .LBB17_3
.LBB17_6:
                                        ; implicit-def: $sgpr29
.LBB17_7:
	s_waitcnt lgkmcnt(0)
	s_mov_b32 s29, s4
.LBB17_8:
	s_waitcnt lgkmcnt(0)
	s_cmp_eq_u32 s28, 0
	s_cselect_b32 s3, -1, 0
	s_cmp_eq_u32 s29, 1
	s_cselect_b32 s4, -1, 0
	s_delay_alu instid0(SALU_CYCLE_1) | instskip(NEXT) | instid1(SALU_CYCLE_1)
	s_and_b32 s3, s3, s4
	s_and_b32 vcc_lo, exec_lo, s3
	s_cbranch_vccnz .LBB17_61
; %bb.9:
	s_clause 0x1
	s_load_b128 s[24:27], s[0:1], 0x8
	s_load_b64 s[4:5], s[0:1], 0x30
	s_ashr_i32 s15, s14, 31
	s_mov_b64 s[12:13], 0
	s_mov_b64 s[22:23], 0
	s_waitcnt lgkmcnt(0)
	v_cmp_ge_i64_e64 s6, s[14:15], s[24:25]
	v_cmp_lt_i64_e64 s3, s[14:15], s[24:25]
	s_delay_alu instid0(VALU_DEP_2)
	s_and_b32 vcc_lo, exec_lo, s6
	s_cbranch_vccz .LBB17_12
; %bb.10:
	s_delay_alu instid0(VALU_DEP_1)
	s_and_not1_b32 vcc_lo, exec_lo, s3
	s_cbranch_vccz .LBB17_13
.LBB17_11:
	s_load_b64 s[24:25], s[0:1], 0x48
	s_waitcnt lgkmcnt(0)
	v_cmp_lt_i64_e64 s4, s[24:25], 1
	s_delay_alu instid0(VALU_DEP_1)
	s_and_b32 vcc_lo, exec_lo, s4
	s_cbranch_vccz .LBB17_14
	s_branch .LBB17_61
.LBB17_12:
	s_lshl_b64 s[6:7], s[14:15], 3
	s_delay_alu instid0(SALU_CYCLE_1)
	s_add_u32 s6, s4, s6
	s_addc_u32 s7, s5, s7
	s_load_b64 s[6:7], s[6:7], 0x0
	s_waitcnt lgkmcnt(0)
	s_sub_u32 s22, s6, s21
	s_subb_u32 s23, s7, 0
	s_and_not1_b32 vcc_lo, exec_lo, s3
	s_cbranch_vccnz .LBB17_11
.LBB17_13:
	s_lshl_b64 s[6:7], s[14:15], 3
	s_delay_alu instid0(SALU_CYCLE_1)
	s_add_u32 s4, s4, s6
	s_addc_u32 s5, s5, s7
	s_load_b64 s[4:5], s[4:5], 0x8
	s_waitcnt lgkmcnt(0)
	s_sub_u32 s12, s4, s21
	s_subb_u32 s13, s5, 0
	s_load_b64 s[24:25], s[0:1], 0x48
	s_waitcnt lgkmcnt(0)
	v_cmp_lt_i64_e64 s4, s[24:25], 1
	s_delay_alu instid0(VALU_DEP_1)
	s_and_b32 vcc_lo, exec_lo, s4
	s_cbranch_vccnz .LBB17_61
.LBB17_14:
	s_clause 0x1
	s_load_b64 s[36:37], s[0:1], 0x0
	s_load_b128 s[4:7], s[0:1], 0x70
	v_bfe_u32 v1, v0, 10, 10
	s_clause 0x1
	s_load_b128 s[8:11], s[0:1], 0x38
	s_load_b128 s[16:19], s[0:1], 0x50
	v_dual_mov_b32 v8, 0 :: v_dual_and_b32 v3, 0x3ff, v0
	s_mul_i32 s0, s14, s25
	v_lshl_add_u32 v7, s2, 5, v1
	v_lshlrev_b32_e32 v2, 5, v1
	s_mul_hi_u32 s1, s14, s24
	s_mul_i32 s30, s14, s24
	s_mul_i32 s2, s24, s25
	v_lshlrev_b64 v[5:6], 2, v[7:8]
	v_add_lshl_u32 v22, v2, v3, 2
	v_mov_b32_e32 v4, v8
	s_mul_hi_u32 s14, s24, s24
	v_lshlrev_b32_e32 v24, 2, v3
	v_lshl_add_u32 v25, v1, 7, 0x1000
	v_add_nc_u32_e32 v23, 0x1000, v22
	v_mad_u64_u32 v[13:14], null, s22, s24, v[3:4]
	s_waitcnt lgkmcnt(0)
	v_mad_u64_u32 v[9:10], null, v7, s6, 0
	s_bitcmp1_b32 s36, 0
	v_add_co_u32 v0, vcc_lo, s4, v5
	s_cselect_b32 s15, -1, 0
	s_add_i32 s31, s1, s0
	s_add_i32 s0, s14, s2
	s_delay_alu instid0(VALU_DEP_2) | instskip(SKIP_2) | instid1(VALU_DEP_3)
	v_mov_b32_e32 v2, v10
	v_add_co_u32 v5, s1, s16, v7
	v_add_co_ci_u32_e32 v21, vcc_lo, s5, v6, vcc_lo
	v_mad_u64_u32 v[10:11], null, v7, s7, v[2:3]
	v_mad_u64_u32 v[11:12], null, v7, s18, v[3:4]
	s_add_i32 s34, s0, s2
	v_add_co_ci_u32_e64 v6, null, s17, 0, s1
	s_mul_i32 s1, s23, s24
	s_mul_i32 s2, s22, s25
	v_mov_b32_e32 v2, v8
	s_delay_alu instid0(VALU_DEP_3)
	v_mov_b32_e32 v4, v12
	v_add3_u32 v12, s2, s1, v14
	v_cmp_gt_i64_e64 s0, s[26:27], v[7:8]
	v_lshlrev_b64 v[8:9], 2, v[9:10]
	v_mul_lo_u32 v10, s25, v13
	v_mad_u64_u32 v[14:15], null, v7, s19, v[4:5]
	v_mul_lo_u32 v7, s24, v12
	v_mad_u64_u32 v[15:16], null, s24, v13, v[1:2]
	v_add_co_u32 v2, vcc_lo, s4, v8
	s_xor_b32 s33, s15, -1
	s_delay_alu instid0(VALU_DEP_4) | instskip(SKIP_2) | instid1(VALU_DEP_4)
	v_mov_b32_e32 v8, v14
	s_cmp_lg_u32 s37, 0
	v_add_co_ci_u32_e32 v4, vcc_lo, s5, v9, vcc_lo
	v_add3_u32 v9, v10, v16, v7
	v_add_co_u32 v26, vcc_lo, s16, v11
	s_cselect_b32 s26, -1, 0
	s_and_b32 s27, s3, s0
	s_cmp_lg_u32 s29, 0
	v_add_co_ci_u32_e32 v27, vcc_lo, s17, v8, vcc_lo
	v_add_co_u32 v7, vcc_lo, s10, v15
	s_cselect_b32 s36, -1, 0
	s_cmp_lg_u32 s20, 1
	v_cmp_lt_i64_e64 s20, s[22:23], s[12:13]
	v_add_co_ci_u32_e32 v8, vcc_lo, s11, v9, vcc_lo
	s_mul_i32 s35, s24, s24
	s_cselect_b32 s37, -1, 0
	s_lshl_b64 s[2:3], s[24:25], 5
	s_mov_b64 s[4:5], 0
	s_branch .LBB17_16
.LBB17_15:                              ;   in Loop: Header=BB17_16 Depth=1
	s_or_b32 exec_lo, exec_lo, s1
	s_add_u32 s4, s4, 32
	s_addc_u32 s5, s5, 0
	v_add_co_u32 v7, vcc_lo, v7, s2
	v_cmp_lt_i64_e64 s1, s[4:5], s[24:25]
	v_add_co_ci_u32_e32 v8, vcc_lo, s3, v8, vcc_lo
	s_delay_alu instid0(VALU_DEP_2)
	s_and_b32 vcc_lo, exec_lo, s1
	s_cbranch_vccz .LBB17_61
.LBB17_16:                              ; =>This Loop Header: Depth=1
                                        ;     Child Loop BB17_19 Depth 2
                                        ;       Child Loop BB17_21 Depth 3
	v_add_co_u32 v9, s1, s4, v3
	s_delay_alu instid0(VALU_DEP_1) | instskip(SKIP_2) | instid1(VALU_DEP_2)
	v_add_co_ci_u32_e64 v10, null, s5, 0, s1
	v_mov_b32_e32 v28, 0
	s_and_not1_b32 vcc_lo, exec_lo, s20
	v_cmp_gt_i64_e64 s1, s[24:25], v[9:10]
	s_cbranch_vccnz .LBB17_49
; %bb.17:                               ;   in Loop: Header=BB17_16 Depth=1
	v_add_co_u32 v11, vcc_lo, s10, v9
	v_mov_b32_e32 v14, v8
	v_add_co_ci_u32_e32 v12, vcc_lo, s11, v10, vcc_lo
	v_dual_mov_b32 v28, 0 :: v_dual_mov_b32 v13, v7
	s_mov_b64 s[14:15], s[22:23]
	s_branch .LBB17_19
.LBB17_18:                              ;   in Loop: Header=BB17_19 Depth=2
	s_add_u32 s14, s14, 1
	s_addc_u32 s15, s15, 0
	v_add_co_u32 v13, vcc_lo, v13, s35
	v_cmp_ge_i64_e64 s16, s[14:15], s[12:13]
	v_add_co_ci_u32_e32 v14, vcc_lo, s34, v14, vcc_lo
	s_delay_alu instid0(VALU_DEP_2)
	s_and_b32 vcc_lo, exec_lo, s16
	s_cbranch_vccnz .LBB17_49
.LBB17_19:                              ;   Parent Loop BB17_16 Depth=1
                                        ; =>  This Loop Header: Depth=2
                                        ;       Child Loop BB17_21 Depth 3
	s_lshl_b64 s[16:17], s[14:15], 3
	v_mad_u64_u32 v[15:16], null, s35, s14, v[11:12]
	s_add_u32 s16, s8, s16
	s_addc_u32 s17, s9, s17
	s_mul_i32 s38, s34, s14
	s_load_b64 s[16:17], s[16:17], 0x0
	s_mul_i32 s39, s35, s15
	s_delay_alu instid0(VALU_DEP_1) | instid1(SALU_CYCLE_1)
	v_add3_u32 v16, s39, s38, v16
	s_waitcnt lgkmcnt(0)
	s_sub_u32 s16, s16, s21
	s_subb_u32 s17, s17, 0
	s_mul_i32 s38, s16, s25
	s_mul_hi_u32 s39, s16, s24
	s_mul_i32 s17, s17, s24
	s_add_i32 s39, s39, s38
	s_mul_i32 s38, s16, s24
	s_add_i32 s39, s39, s17
	v_add_co_u32 v29, vcc_lo, v26, s38
	v_add_co_ci_u32_e32 v30, vcc_lo, s39, v27, vcc_lo
	s_mov_b64 s[16:17], 0
	s_branch .LBB17_21
.LBB17_20:                              ;   in Loop: Header=BB17_21 Depth=3
	s_or_b32 exec_lo, exec_lo, s41
	s_waitcnt vmcnt(0)
	ds_store_b32 v22, v19
	s_waitcnt lgkmcnt(0)
	s_waitcnt_vscnt null, 0x0
	s_barrier
	buffer_gl0_inv
	ds_load_2addr_b32 v[47:48], v24 offset0:64 offset1:96
	v_add_nc_u32_e32 v43, 0x400, v24
	ds_load_b128 v[17:20], v25
	ds_load_2addr_b32 v[58:59], v24 offset1:32
	ds_load_b128 v[31:34], v25 offset:16
	ds_load_2addr_b32 v[49:50], v24 offset0:192 offset1:224
	ds_load_2addr_b32 v[60:61], v24 offset0:128 offset1:160
	;; [unrolled: 1-line block ×3, first 2 shown]
	ds_load_b128 v[35:38], v25 offset:32
	ds_load_2addr_b32 v[62:63], v43 offset1:32
	v_add_nc_u32_e32 v57, 0x800, v24
	ds_load_b128 v[39:42], v25 offset:48
	ds_load_2addr_b32 v[53:54], v43 offset0:192 offset1:224
	ds_load_2addr_b32 v[64:65], v43 offset0:128 offset1:160
	;; [unrolled: 1-line block ×3, first 2 shown]
	ds_load_b128 v[43:46], v25 offset:64
	ds_load_2addr_b32 v[66:67], v57 offset1:32
	s_add_u32 s16, s16, 32
	s_addc_u32 s17, s17, 0
	s_delay_alu instid0(SALU_CYCLE_1) | instskip(NEXT) | instid1(VALU_DEP_1)
	v_cmp_ge_i64_e64 s40, s[16:17], s[24:25]
	s_and_b32 vcc_lo, exec_lo, s40
	s_waitcnt lgkmcnt(12)
	v_mul_lo_u32 v73, v17, v58
	s_waitcnt lgkmcnt(10)
	v_mul_lo_u32 v74, v33, v49
	;; [unrolled: 2-line block ×3, first 2 shown]
	v_mul_lo_u32 v72, v19, v47
	v_mul_lo_u32 v17, v20, v48
	;; [unrolled: 1-line block ×3, first 2 shown]
	ds_load_2addr_b32 v[33:34], v57 offset0:192 offset1:224
	ds_load_b128 v[47:50], v25 offset:80
	ds_load_2addr_b32 v[68:69], v57 offset0:128 offset1:160
	s_waitcnt lgkmcnt(10)
	v_mul_lo_u32 v20, v38, v52
	s_waitcnt lgkmcnt(6)
	v_mul_lo_u32 v64, v39, v64
	v_add_nc_u32_e32 v39, 0xc00, v24
	v_mul_lo_u32 v75, v37, v51
	v_mul_lo_u32 v62, v35, v62
	;; [unrolled: 1-line block ×4, first 2 shown]
	s_waitcnt lgkmcnt(4)
	v_mul_lo_u32 v77, v45, v55
	v_mul_lo_u32 v35, v46, v56
	ds_load_2addr_b32 v[37:38], v39 offset1:32
	ds_load_2addr_b32 v[41:42], v39 offset0:64 offset1:96
	ds_load_b128 v[51:54], v25 offset:96
	ds_load_2addr_b32 v[45:46], v39 offset0:192 offset1:224
	ds_load_b128 v[55:58], v25 offset:112
	v_mad_u64_u32 v[70:71], null, v18, v59, v[17:18]
	v_mad_u64_u32 v[17:18], null, v32, v61, v[19:20]
	s_waitcnt lgkmcnt(8)
	v_mul_lo_u32 v43, v43, v66
	s_waitcnt lgkmcnt(6)
	v_mul_lo_u32 v49, v49, v33
	v_mad_u64_u32 v[32:33], null, v36, v63, v[20:21]
	ds_load_2addr_b32 v[19:20], v39 offset0:128 offset1:160
	v_mul_lo_u32 v18, v50, v34
	v_add3_u32 v36, v73, v72, v70
	v_add3_u32 v50, v60, v74, v17
	s_waitcnt lgkmcnt(6)
	v_mul_lo_u32 v47, v47, v68
	s_waitcnt lgkmcnt(0)
	v_mad_u64_u32 v[33:34], null, v40, v65, v[31:32]
	v_add3_u32 v32, v62, v75, v32
	v_mul_lo_u32 v17, v54, v42
	v_mad_u64_u32 v[39:40], null, v44, v67, v[35:36]
	v_mul_lo_u32 v31, v58, v46
	s_delay_alu instid0(VALU_DEP_4)
	v_add3_u32 v36, v36, v50, v32
	v_add3_u32 v40, v64, v76, v33
	v_mul_lo_u32 v35, v53, v41
	v_mul_lo_u32 v37, v51, v37
	s_barrier
	v_add3_u32 v39, v43, v77, v39
	buffer_gl0_inv
	v_mad_u64_u32 v[32:33], null, v48, v69, v[18:19]
	v_mad_u64_u32 v[33:34], null, v52, v38, v[17:18]
	v_mul_lo_u32 v34, v57, v45
	v_mul_lo_u32 v19, v55, v19
	v_add3_u32 v36, v36, v40, v39
	v_mad_u64_u32 v[17:18], null, v56, v20, v[31:32]
	v_add3_u32 v18, v47, v49, v32
	v_add3_u32 v20, v37, v35, v33
	s_delay_alu instid0(VALU_DEP_1) | instskip(NEXT) | instid1(VALU_DEP_4)
	v_add3_u32 v18, v36, v18, v20
	v_add3_u32 v17, v19, v34, v17
	s_delay_alu instid0(VALU_DEP_1)
	v_add3_u32 v28, v18, v17, v28
	s_cbranch_vccnz .LBB17_18
.LBB17_21:                              ;   Parent Loop BB17_16 Depth=1
                                        ;     Parent Loop BB17_19 Depth=2
                                        ; =>    This Inner Loop Header: Depth=3
	s_and_b32 vcc_lo, exec_lo, s33
	s_cbranch_vccz .LBB17_27
; %bb.22:                               ;   in Loop: Header=BB17_21 Depth=3
	s_mov_b32 s41, 0
	s_mov_b32 s40, 0
                                        ; implicit-def: $vgpr17_vgpr18
	s_and_saveexec_b32 s42, s0
	s_cbranch_execz .LBB17_26
; %bb.23:                               ;   in Loop: Header=BB17_21 Depth=3
	v_add_co_u32 v19, s40, s16, v3
	s_delay_alu instid0(VALU_DEP_1) | instskip(SKIP_2) | instid1(VALU_DEP_1)
	v_add_co_ci_u32_e64 v20, null, s17, 0, s40
	s_mov_b32 s40, 0
	s_mov_b32 s43, exec_lo
                                        ; implicit-def: $vgpr17_vgpr18
	v_cmpx_gt_i64_e64 s[24:25], v[19:20]
	s_xor_b32 s43, exec_lo, s43
; %bb.24:                               ;   in Loop: Header=BB17_21 Depth=3
	v_add_co_u32 v19, vcc_lo, v19, s38
	v_add_co_ci_u32_e32 v17, vcc_lo, s39, v20, vcc_lo
	s_mov_b32 s40, exec_lo
	s_delay_alu instid0(VALU_DEP_2) | instskip(NEXT) | instid1(VALU_DEP_2)
	v_mul_lo_u32 v20, v19, s19
	v_mul_lo_u32 v31, v17, s18
	v_mad_u64_u32 v[17:18], null, v19, s18, v[5:6]
	s_delay_alu instid0(VALU_DEP_1)
	v_add3_u32 v18, v31, v18, v20
; %bb.25:                               ;   in Loop: Header=BB17_21 Depth=3
	s_or_b32 exec_lo, exec_lo, s43
	s_delay_alu instid0(SALU_CYCLE_1)
	s_and_b32 s40, s40, exec_lo
.LBB17_26:                              ;   in Loop: Header=BB17_21 Depth=3
	s_or_b32 exec_lo, exec_lo, s42
	s_delay_alu instid0(SALU_CYCLE_1)
	s_and_b32 vcc_lo, exec_lo, s41
	s_cbranch_vccnz .LBB17_28
	s_branch .LBB17_33
.LBB17_27:                              ;   in Loop: Header=BB17_21 Depth=3
	s_mov_b32 s41, -1
	s_mov_b32 s40, 0
                                        ; implicit-def: $vgpr17_vgpr18
	s_cbranch_execz .LBB17_33
.LBB17_28:                              ;   in Loop: Header=BB17_21 Depth=3
                                        ; implicit-def: $vgpr17_vgpr18
	s_and_saveexec_b32 s41, s0
	s_cbranch_execz .LBB17_32
; %bb.29:                               ;   in Loop: Header=BB17_21 Depth=3
	v_add_co_u32 v17, s42, v3, s16
	s_delay_alu instid0(VALU_DEP_1) | instskip(SKIP_1) | instid1(VALU_DEP_1)
	v_add_co_ci_u32_e64 v18, null, 0, s17, s42
	s_mov_b32 s42, s40
	v_cmp_gt_i64_e32 vcc_lo, s[24:25], v[17:18]
                                        ; implicit-def: $vgpr17_vgpr18
	s_and_saveexec_b32 s43, vcc_lo
; %bb.30:                               ;   in Loop: Header=BB17_21 Depth=3
	v_add_co_u32 v17, vcc_lo, v29, s16
	v_add_co_ci_u32_e32 v18, vcc_lo, s17, v30, vcc_lo
	s_or_b32 s42, s40, exec_lo
; %bb.31:                               ;   in Loop: Header=BB17_21 Depth=3
	s_or_b32 exec_lo, exec_lo, s43
	s_delay_alu instid0(SALU_CYCLE_1) | instskip(SKIP_1) | instid1(SALU_CYCLE_1)
	s_and_not1_b32 s40, s40, exec_lo
	s_and_b32 s42, s42, exec_lo
	s_or_b32 s40, s40, s42
.LBB17_32:                              ;   in Loop: Header=BB17_21 Depth=3
	s_or_b32 exec_lo, exec_lo, s41
	s_mov_b32 s41, 0
.LBB17_33:                              ;   in Loop: Header=BB17_21 Depth=3
	s_delay_alu instid0(SALU_CYCLE_1)
	v_mov_b32_e32 v19, s41
	s_and_saveexec_b32 s41, s40
	s_cbranch_execnz .LBB17_41
; %bb.34:                               ;   in Loop: Header=BB17_21 Depth=3
	s_or_b32 exec_lo, exec_lo, s41
	s_delay_alu instid0(SALU_CYCLE_1)
	s_and_b32 vcc_lo, exec_lo, s26
	ds_store_b32 v23, v19
	s_cbranch_vccz .LBB17_42
.LBB17_35:                              ;   in Loop: Header=BB17_21 Depth=3
	s_mov_b32 s41, 0
	s_mov_b32 s40, 0
                                        ; implicit-def: $vgpr17_vgpr18
	s_and_saveexec_b32 s42, s1
	s_cbranch_execz .LBB17_39
; %bb.36:                               ;   in Loop: Header=BB17_21 Depth=3
	v_add_co_u32 v19, s40, s16, v1
	s_delay_alu instid0(VALU_DEP_1) | instskip(SKIP_2) | instid1(VALU_DEP_1)
	v_add_co_ci_u32_e64 v20, null, s17, 0, s40
	s_mov_b32 s40, 0
	s_mov_b32 s43, exec_lo
                                        ; implicit-def: $vgpr17_vgpr18
	v_cmpx_gt_i64_e64 s[24:25], v[19:20]
	s_xor_b32 s43, exec_lo, s43
; %bb.37:                               ;   in Loop: Header=BB17_21 Depth=3
	v_mad_u64_u32 v[17:18], null, v19, s24, v[15:16]
	v_mul_lo_u32 v19, v19, s25
	v_mul_lo_u32 v20, v20, s24
	s_mov_b32 s40, exec_lo
	s_delay_alu instid0(VALU_DEP_1)
	v_add3_u32 v18, v20, v18, v19
; %bb.38:                               ;   in Loop: Header=BB17_21 Depth=3
	s_or_b32 exec_lo, exec_lo, s43
	s_delay_alu instid0(SALU_CYCLE_1)
	s_and_b32 s40, s40, exec_lo
.LBB17_39:                              ;   in Loop: Header=BB17_21 Depth=3
	s_or_b32 exec_lo, exec_lo, s42
	s_delay_alu instid0(SALU_CYCLE_1)
	s_and_b32 vcc_lo, exec_lo, s41
	s_cbranch_vccnz .LBB17_43
.LBB17_40:                              ;   in Loop: Header=BB17_21 Depth=3
	v_mov_b32_e32 v19, s41
	s_and_saveexec_b32 s41, s40
	s_cbranch_execz .LBB17_20
	s_branch .LBB17_48
.LBB17_41:                              ;   in Loop: Header=BB17_21 Depth=3
	global_load_i8 v19, v[17:18], off
	s_or_b32 exec_lo, exec_lo, s41
	s_delay_alu instid0(SALU_CYCLE_1)
	s_and_b32 vcc_lo, exec_lo, s26
	s_waitcnt vmcnt(0)
	ds_store_b32 v23, v19
	s_cbranch_vccnz .LBB17_35
.LBB17_42:                              ;   in Loop: Header=BB17_21 Depth=3
	s_mov_b32 s41, -1
	s_mov_b32 s40, 0
                                        ; implicit-def: $vgpr17_vgpr18
	s_cbranch_execz .LBB17_40
.LBB17_43:                              ;   in Loop: Header=BB17_21 Depth=3
                                        ; implicit-def: $vgpr17_vgpr18
	s_and_saveexec_b32 s41, s1
	s_cbranch_execz .LBB17_47
; %bb.44:                               ;   in Loop: Header=BB17_21 Depth=3
	v_add_co_u32 v17, s42, v1, s16
	s_delay_alu instid0(VALU_DEP_1) | instskip(SKIP_1) | instid1(VALU_DEP_1)
	v_add_co_ci_u32_e64 v18, null, 0, s17, s42
	s_mov_b32 s42, s40
	v_cmp_gt_i64_e32 vcc_lo, s[24:25], v[17:18]
                                        ; implicit-def: $vgpr17_vgpr18
	s_and_saveexec_b32 s43, vcc_lo
; %bb.45:                               ;   in Loop: Header=BB17_21 Depth=3
	v_add_co_u32 v17, vcc_lo, v13, s16
	v_add_co_ci_u32_e32 v18, vcc_lo, s17, v14, vcc_lo
	s_or_b32 s42, s40, exec_lo
; %bb.46:                               ;   in Loop: Header=BB17_21 Depth=3
	s_or_b32 exec_lo, exec_lo, s43
	s_delay_alu instid0(SALU_CYCLE_1) | instskip(SKIP_1) | instid1(SALU_CYCLE_1)
	s_and_not1_b32 s40, s40, exec_lo
	s_and_b32 s42, s42, exec_lo
	s_or_b32 s40, s40, s42
.LBB17_47:                              ;   in Loop: Header=BB17_21 Depth=3
	s_or_b32 exec_lo, exec_lo, s41
	s_mov_b32 s41, 0
	s_delay_alu instid0(SALU_CYCLE_1)
	v_mov_b32_e32 v19, s41
	s_and_saveexec_b32 s41, s40
	s_cbranch_execz .LBB17_20
.LBB17_48:                              ;   in Loop: Header=BB17_21 Depth=3
	global_load_i8 v19, v[17:18], off
	s_branch .LBB17_20
.LBB17_49:                              ;   in Loop: Header=BB17_16 Depth=1
	v_cmp_gt_i64_e32 vcc_lo, s[24:25], v[9:10]
	s_and_b32 s14, s27, vcc_lo
	s_delay_alu instid0(SALU_CYCLE_1)
	s_and_saveexec_b32 s1, s14
	s_cbranch_execz .LBB17_15
; %bb.50:                               ;   in Loop: Header=BB17_16 Depth=1
	v_add_co_u32 v9, vcc_lo, v9, s30
	v_add_co_ci_u32_e32 v10, vcc_lo, s31, v10, vcc_lo
	s_and_b32 vcc_lo, exec_lo, s36
	s_cbranch_vccz .LBB17_56
; %bb.51:                               ;   in Loop: Header=BB17_16 Depth=1
	s_and_b32 vcc_lo, exec_lo, s37
	s_mov_b32 s14, -1
	s_cbranch_vccz .LBB17_53
; %bb.52:                               ;   in Loop: Header=BB17_16 Depth=1
	v_mul_lo_u32 v13, v10, s6
	v_mul_lo_u32 v14, v9, s7
	v_mad_u64_u32 v[11:12], null, v9, s6, 0
	s_mov_b32 s14, 0
	s_delay_alu instid0(VALU_DEP_1) | instskip(SKIP_1) | instid1(VALU_DEP_2)
	v_add3_u32 v12, v12, v14, v13
	v_mul_lo_u32 v13, v28, s28
	v_lshlrev_b64 v[11:12], 2, v[11:12]
	s_delay_alu instid0(VALU_DEP_1) | instskip(NEXT) | instid1(VALU_DEP_2)
	v_add_co_u32 v11, vcc_lo, v0, v11
	v_add_co_ci_u32_e32 v12, vcc_lo, v21, v12, vcc_lo
	global_load_b32 v16, v[11:12], off
	s_waitcnt vmcnt(0)
	v_mad_u64_u32 v[14:15], null, v16, s29, v[13:14]
	global_store_b32 v[11:12], v14, off
.LBB17_53:                              ;   in Loop: Header=BB17_16 Depth=1
	s_and_not1_b32 vcc_lo, exec_lo, s14
	s_cbranch_vccnz .LBB17_55
; %bb.54:                               ;   in Loop: Header=BB17_16 Depth=1
	v_lshlrev_b64 v[11:12], 2, v[9:10]
	v_mul_lo_u32 v13, v28, s28
	s_delay_alu instid0(VALU_DEP_2) | instskip(NEXT) | instid1(VALU_DEP_3)
	v_add_co_u32 v11, vcc_lo, v2, v11
	v_add_co_ci_u32_e32 v12, vcc_lo, v4, v12, vcc_lo
	global_load_b32 v16, v[11:12], off
	s_waitcnt vmcnt(0)
	v_mad_u64_u32 v[14:15], null, v16, s29, v[13:14]
	global_store_b32 v[11:12], v14, off
.LBB17_55:                              ;   in Loop: Header=BB17_16 Depth=1
	s_cbranch_execnz .LBB17_15
	s_branch .LBB17_57
.LBB17_56:                              ;   in Loop: Header=BB17_16 Depth=1
.LBB17_57:                              ;   in Loop: Header=BB17_16 Depth=1
	v_mul_lo_u32 v11, v28, s28
	s_and_b32 vcc_lo, exec_lo, s37
	s_mov_b32 s14, -1
	s_cbranch_vccz .LBB17_59
; %bb.58:                               ;   in Loop: Header=BB17_16 Depth=1
	v_mul_lo_u32 v14, v10, s6
	v_mul_lo_u32 v15, v9, s7
	v_mad_u64_u32 v[12:13], null, v9, s6, 0
	s_mov_b32 s14, 0
	s_delay_alu instid0(VALU_DEP_1) | instskip(NEXT) | instid1(VALU_DEP_1)
	v_add3_u32 v13, v13, v15, v14
	v_lshlrev_b64 v[12:13], 2, v[12:13]
	s_delay_alu instid0(VALU_DEP_1) | instskip(NEXT) | instid1(VALU_DEP_2)
	v_add_co_u32 v12, vcc_lo, v0, v12
	v_add_co_ci_u32_e32 v13, vcc_lo, v21, v13, vcc_lo
	global_store_b32 v[12:13], v11, off
.LBB17_59:                              ;   in Loop: Header=BB17_16 Depth=1
	s_and_not1_b32 vcc_lo, exec_lo, s14
	s_cbranch_vccnz .LBB17_15
; %bb.60:                               ;   in Loop: Header=BB17_16 Depth=1
	v_lshlrev_b64 v[9:10], 2, v[9:10]
	s_delay_alu instid0(VALU_DEP_1) | instskip(NEXT) | instid1(VALU_DEP_2)
	v_add_co_u32 v9, vcc_lo, v2, v9
	v_add_co_ci_u32_e32 v10, vcc_lo, v4, v10, vcc_lo
	global_store_b32 v[9:10], v11, off
	s_branch .LBB17_15
.LBB17_61:
	s_nop 0
	s_sendmsg sendmsg(MSG_DEALLOC_VGPRS)
	s_endpgm
	.section	.rodata,"a",@progbits
	.p2align	6, 0x0
	.amdhsa_kernel _ZN9rocsparseL29bsrmm_general_blockdim_kernelILj32ELj32EllaaiiEEvb20rocsparse_direction_T2_S2_llNS_24const_host_device_scalarIT6_EEPKT1_PKS2_PKT3_S2_PKT4_llS5_PT5_ll16rocsparse_order_21rocsparse_index_base_b
		.amdhsa_group_segment_fixed_size 8192
		.amdhsa_private_segment_fixed_size 0
		.amdhsa_kernarg_size 148
		.amdhsa_user_sgpr_count 14
		.amdhsa_user_sgpr_dispatch_ptr 0
		.amdhsa_user_sgpr_queue_ptr 0
		.amdhsa_user_sgpr_kernarg_segment_ptr 1
		.amdhsa_user_sgpr_dispatch_id 0
		.amdhsa_user_sgpr_private_segment_size 0
		.amdhsa_wavefront_size32 1
		.amdhsa_uses_dynamic_stack 0
		.amdhsa_enable_private_segment 0
		.amdhsa_system_sgpr_workgroup_id_x 1
		.amdhsa_system_sgpr_workgroup_id_y 1
		.amdhsa_system_sgpr_workgroup_id_z 0
		.amdhsa_system_sgpr_workgroup_info 0
		.amdhsa_system_vgpr_workitem_id 1
		.amdhsa_next_free_vgpr 78
		.amdhsa_next_free_sgpr 44
		.amdhsa_reserve_vcc 1
		.amdhsa_float_round_mode_32 0
		.amdhsa_float_round_mode_16_64 0
		.amdhsa_float_denorm_mode_32 3
		.amdhsa_float_denorm_mode_16_64 3
		.amdhsa_dx10_clamp 1
		.amdhsa_ieee_mode 1
		.amdhsa_fp16_overflow 0
		.amdhsa_workgroup_processor_mode 1
		.amdhsa_memory_ordered 1
		.amdhsa_forward_progress 0
		.amdhsa_shared_vgpr_count 0
		.amdhsa_exception_fp_ieee_invalid_op 0
		.amdhsa_exception_fp_denorm_src 0
		.amdhsa_exception_fp_ieee_div_zero 0
		.amdhsa_exception_fp_ieee_overflow 0
		.amdhsa_exception_fp_ieee_underflow 0
		.amdhsa_exception_fp_ieee_inexact 0
		.amdhsa_exception_int_div_zero 0
	.end_amdhsa_kernel
	.section	.text._ZN9rocsparseL29bsrmm_general_blockdim_kernelILj32ELj32EllaaiiEEvb20rocsparse_direction_T2_S2_llNS_24const_host_device_scalarIT6_EEPKT1_PKS2_PKT3_S2_PKT4_llS5_PT5_ll16rocsparse_order_21rocsparse_index_base_b,"axG",@progbits,_ZN9rocsparseL29bsrmm_general_blockdim_kernelILj32ELj32EllaaiiEEvb20rocsparse_direction_T2_S2_llNS_24const_host_device_scalarIT6_EEPKT1_PKS2_PKT3_S2_PKT4_llS5_PT5_ll16rocsparse_order_21rocsparse_index_base_b,comdat
.Lfunc_end17:
	.size	_ZN9rocsparseL29bsrmm_general_blockdim_kernelILj32ELj32EllaaiiEEvb20rocsparse_direction_T2_S2_llNS_24const_host_device_scalarIT6_EEPKT1_PKS2_PKT3_S2_PKT4_llS5_PT5_ll16rocsparse_order_21rocsparse_index_base_b, .Lfunc_end17-_ZN9rocsparseL29bsrmm_general_blockdim_kernelILj32ELj32EllaaiiEEvb20rocsparse_direction_T2_S2_llNS_24const_host_device_scalarIT6_EEPKT1_PKS2_PKT3_S2_PKT4_llS5_PT5_ll16rocsparse_order_21rocsparse_index_base_b
                                        ; -- End function
	.section	.AMDGPU.csdata,"",@progbits
; Kernel info:
; codeLenInByte = 2736
; NumSgprs: 46
; NumVgprs: 78
; ScratchSize: 0
; MemoryBound: 0
; FloatMode: 240
; IeeeMode: 1
; LDSByteSize: 8192 bytes/workgroup (compile time only)
; SGPRBlocks: 5
; VGPRBlocks: 9
; NumSGPRsForWavesPerEU: 46
; NumVGPRsForWavesPerEU: 78
; Occupancy: 16
; WaveLimiterHint : 1
; COMPUTE_PGM_RSRC2:SCRATCH_EN: 0
; COMPUTE_PGM_RSRC2:USER_SGPR: 14
; COMPUTE_PGM_RSRC2:TRAP_HANDLER: 0
; COMPUTE_PGM_RSRC2:TGID_X_EN: 1
; COMPUTE_PGM_RSRC2:TGID_Y_EN: 1
; COMPUTE_PGM_RSRC2:TGID_Z_EN: 0
; COMPUTE_PGM_RSRC2:TIDIG_COMP_CNT: 1
	.section	.text._ZN9rocsparseL29bsrmm_general_blockdim_kernelILj32ELj32EiiaaffEEvb20rocsparse_direction_T2_S2_llNS_24const_host_device_scalarIT6_EEPKT1_PKS2_PKT3_S2_PKT4_llS5_PT5_ll16rocsparse_order_21rocsparse_index_base_b,"axG",@progbits,_ZN9rocsparseL29bsrmm_general_blockdim_kernelILj32ELj32EiiaaffEEvb20rocsparse_direction_T2_S2_llNS_24const_host_device_scalarIT6_EEPKT1_PKS2_PKT3_S2_PKT4_llS5_PT5_ll16rocsparse_order_21rocsparse_index_base_b,comdat
	.globl	_ZN9rocsparseL29bsrmm_general_blockdim_kernelILj32ELj32EiiaaffEEvb20rocsparse_direction_T2_S2_llNS_24const_host_device_scalarIT6_EEPKT1_PKS2_PKT3_S2_PKT4_llS5_PT5_ll16rocsparse_order_21rocsparse_index_base_b ; -- Begin function _ZN9rocsparseL29bsrmm_general_blockdim_kernelILj32ELj32EiiaaffEEvb20rocsparse_direction_T2_S2_llNS_24const_host_device_scalarIT6_EEPKT1_PKS2_PKT3_S2_PKT4_llS5_PT5_ll16rocsparse_order_21rocsparse_index_base_b
	.p2align	8
	.type	_ZN9rocsparseL29bsrmm_general_blockdim_kernelILj32ELj32EiiaaffEEvb20rocsparse_direction_T2_S2_llNS_24const_host_device_scalarIT6_EEPKT1_PKS2_PKT3_S2_PKT4_llS5_PT5_ll16rocsparse_order_21rocsparse_index_base_b,@function
_ZN9rocsparseL29bsrmm_general_blockdim_kernelILj32ELj32EiiaaffEEvb20rocsparse_direction_T2_S2_llNS_24const_host_device_scalarIT6_EEPKT1_PKS2_PKT3_S2_PKT4_llS5_PT5_ll16rocsparse_order_21rocsparse_index_base_b: ; @_ZN9rocsparseL29bsrmm_general_blockdim_kernelILj32ELj32EiiaaffEEvb20rocsparse_direction_T2_S2_llNS_24const_host_device_scalarIT6_EEPKT1_PKS2_PKT3_S2_PKT4_llS5_PT5_ll16rocsparse_order_21rocsparse_index_base_b
; %bb.0:
	s_clause 0x2
	s_load_b128 s[4:7], s[0:1], 0x80
	s_load_b64 s[12:13], s[0:1], 0x20
	s_load_b64 s[28:29], s[0:1], 0x60
	s_mov_b32 s2, s15
	s_waitcnt lgkmcnt(0)
	s_bitcmp1_b32 s6, 0
	s_cselect_b32 s3, -1, 0
	s_delay_alu instid0(SALU_CYCLE_1)
	s_and_b32 vcc_lo, exec_lo, s3
	s_xor_b32 s3, s3, -1
	s_cbranch_vccnz .LBB18_2
; %bb.1:
	s_load_b32 s12, s[12:13], 0x0
.LBB18_2:
	s_and_not1_b32 vcc_lo, exec_lo, s3
	s_cbranch_vccnz .LBB18_4
; %bb.3:
	s_load_b32 s28, s[28:29], 0x0
.LBB18_4:
	s_waitcnt lgkmcnt(0)
	v_cmp_eq_f32_e64 s3, s12, 0
	v_cmp_eq_f32_e64 s6, s28, 1.0
	s_mov_b32 s13, 0
	s_delay_alu instid0(VALU_DEP_1) | instskip(NEXT) | instid1(SALU_CYCLE_1)
	s_and_b32 s3, s3, s6
	s_and_b32 vcc_lo, exec_lo, s3
	s_cbranch_vccnz .LBB18_57
; %bb.5:
	s_clause 0x1
	s_load_b128 s[24:27], s[0:1], 0x0
	s_load_b64 s[6:7], s[0:1], 0x28
	s_waitcnt lgkmcnt(0)
	s_cmp_lt_i32 s14, s26
	s_cselect_b32 s3, -1, 0
	s_cmp_ge_i32 s14, s26
	s_cbranch_scc0 .LBB18_8
; %bb.6:
	s_and_not1_b32 vcc_lo, exec_lo, s3
	s_mov_b32 s15, 0
	s_cbranch_vccz .LBB18_9
.LBB18_7:
	s_load_b32 s6, s[0:1], 0x40
	s_waitcnt lgkmcnt(0)
	s_cmp_lt_i32 s6, 1
	s_cbranch_scc0 .LBB18_10
	s_branch .LBB18_57
.LBB18_8:
	s_ashr_i32 s15, s14, 31
	s_delay_alu instid0(SALU_CYCLE_1) | instskip(NEXT) | instid1(SALU_CYCLE_1)
	s_lshl_b64 s[8:9], s[14:15], 2
	s_add_u32 s8, s6, s8
	s_addc_u32 s9, s7, s9
	s_load_b32 s8, s[8:9], 0x0
	s_waitcnt lgkmcnt(0)
	s_sub_i32 s13, s8, s5
	s_and_not1_b32 vcc_lo, exec_lo, s3
	s_mov_b32 s15, 0
	s_cbranch_vccnz .LBB18_7
.LBB18_9:
	s_ashr_i32 s15, s14, 31
	s_delay_alu instid0(SALU_CYCLE_1) | instskip(NEXT) | instid1(SALU_CYCLE_1)
	s_lshl_b64 s[8:9], s[14:15], 2
	s_add_u32 s6, s6, s8
	s_addc_u32 s7, s7, s9
	s_load_b32 s6, s[6:7], 0x4
	s_waitcnt lgkmcnt(0)
	s_sub_i32 s15, s6, s5
	s_load_b32 s6, s[0:1], 0x40
	s_waitcnt lgkmcnt(0)
	s_cmp_lt_i32 s6, 1
	s_cbranch_scc1 .LBB18_57
.LBB18_10:
	s_clause 0x1
	s_load_b128 s[8:11], s[0:1], 0x48
	s_load_b128 s[16:19], s[0:1], 0x68
	v_bfe_u32 v1, v0, 10, 10
	v_and_b32_e32 v0, 0x3ff, v0
	s_bitcmp1_b32 s24, 0
	s_load_b128 s[20:23], s[0:1], 0x30
	s_cselect_b32 s0, -1, 0
	v_lshl_add_u32 v6, s2, 5, v1
	v_lshlrev_b32_e32 v2, 5, v1
	s_xor_b32 s7, s0, -1
	v_mad_u64_u32 v[19:20], null, s13, s6, v[0:1]
	s_delay_alu instid0(VALU_DEP_3) | instskip(NEXT) | instid1(VALU_DEP_3)
	v_ashrrev_i32_e32 v7, 31, v6
	v_add_lshl_u32 v11, v2, v0, 2
	v_cmp_gt_i32_e64 s0, s27, v6
	v_lshlrev_b32_e32 v17, 2, v0
	s_cmp_lt_i32 s13, s15
	v_cmp_neq_f32_e64 s26, s28, 0
	s_cselect_b32 s24, -1, 0
	s_cmp_lg_u32 s25, 0
	s_waitcnt lgkmcnt(0)
	v_mul_lo_u32 v10, v7, s10
	v_mul_lo_u32 v14, v7, s18
	;; [unrolled: 1-line block ×3, first 2 shown]
	v_mad_u64_u32 v[8:9], null, v6, s18, 0
	v_mul_lo_u32 v13, v6, s11
	v_mad_u64_u32 v[2:3], null, v6, s10, s[8:9]
	v_add_co_u32 v4, vcc_lo, s8, v6
	v_add_co_ci_u32_e32 v5, vcc_lo, s9, v7, vcc_lo
	v_add3_u32 v9, v9, v15, v14
	v_lshlrev_b64 v[6:7], 2, v[6:7]
	v_add3_u32 v3, v10, v3, v13
	v_add_nc_u32_e32 v12, 0x1000, v11
	s_cselect_b32 s9, -1, 0
	v_lshlrev_b64 v[8:9], 2, v[8:9]
	s_and_b32 s25, s3, s0
	v_add_co_u32 v13, vcc_lo, s16, v6
	v_add_co_ci_u32_e32 v14, vcc_lo, s17, v7, vcc_lo
	v_mad_u64_u32 v[6:7], null, s6, v19, v[1:2]
	s_delay_alu instid0(VALU_DEP_4)
	v_add_co_u32 v15, vcc_lo, s16, v8
	v_add_co_ci_u32_e32 v16, vcc_lo, s17, v9, vcc_lo
	v_lshl_add_u32 v18, v1, 7, 0x1000
	v_add_nc_u32_e32 v19, 0x400, v17
	v_add_nc_u32_e32 v20, 0x800, v17
	;; [unrolled: 1-line block ×3, first 2 shown]
	s_cmp_lg_u32 s4, 1
	s_mul_i32 s14, s14, s6
	s_mov_b32 s8, 0
	s_cselect_b32 s4, -1, 0
	s_lshl_b32 s16, s6, 5
	s_mul_i32 s17, s6, s6
	s_branch .LBB18_12
.LBB18_11:                              ;   in Loop: Header=BB18_12 Depth=1
	s_or_b32 exec_lo, exec_lo, s1
	v_add_nc_u32_e32 v6, s16, v6
	s_add_i32 s8, s8, 32
	s_delay_alu instid0(SALU_CYCLE_1)
	s_cmp_lt_i32 s8, s6
	s_cbranch_scc0 .LBB18_57
.LBB18_12:                              ; =>This Loop Header: Depth=1
                                        ;     Child Loop BB18_15 Depth 2
                                        ;       Child Loop BB18_17 Depth 3
	v_dual_mov_b32 v22, 0 :: v_dual_add_nc_u32 v7, s8, v0
	s_and_not1_b32 vcc_lo, exec_lo, s24
	s_delay_alu instid0(VALU_DEP_1)
	v_cmp_gt_i32_e64 s1, s6, v7
	s_cbranch_vccnz .LBB18_45
; %bb.13:                               ;   in Loop: Header=BB18_12 Depth=1
	v_dual_mov_b32 v22, 0 :: v_dual_mov_b32 v23, v6
	s_mov_b32 s2, s13
	s_branch .LBB18_15
.LBB18_14:                              ;   in Loop: Header=BB18_15 Depth=2
	v_add_nc_u32_e32 v23, s17, v23
	s_add_i32 s2, s2, 1
	s_delay_alu instid0(SALU_CYCLE_1)
	s_cmp_ge_i32 s2, s15
	s_cbranch_scc1 .LBB18_45
.LBB18_15:                              ;   Parent Loop BB18_12 Depth=1
                                        ; =>  This Loop Header: Depth=2
                                        ;       Child Loop BB18_17 Depth 3
	s_ashr_i32 s3, s2, 31
	s_mov_b32 s27, 0
	s_lshl_b64 s[30:31], s[2:3], 2
	s_delay_alu instid0(SALU_CYCLE_1) | instskip(SKIP_4) | instid1(SALU_CYCLE_1)
	s_add_u32 s30, s20, s30
	s_addc_u32 s31, s21, s31
	s_load_b32 s3, s[30:31], 0x0
	s_waitcnt lgkmcnt(0)
	s_sub_i32 s3, s3, s5
	v_mad_u64_u32 v[8:9], null, s3, s6, v[0:1]
	s_mul_i32 s3, s2, s6
	s_branch .LBB18_17
.LBB18_16:                              ;   in Loop: Header=BB18_17 Depth=3
	s_or_b32 exec_lo, exec_lo, s30
	ds_store_b32 v11, v10
	s_waitcnt lgkmcnt(0)
	s_waitcnt_vscnt null, 0x0
	s_barrier
	buffer_gl0_inv
	ds_load_2addr_b32 v[9:10], v17 offset1:32
	ds_load_b128 v[24:27], v18
	ds_load_2addr_b32 v[32:33], v17 offset0:64 offset1:96
	ds_load_b128 v[28:31], v18 offset:16
	ds_load_2addr_b32 v[34:35], v17 offset0:128 offset1:160
	s_add_i32 s27, s27, 32
	s_delay_alu instid0(SALU_CYCLE_1) | instskip(SKIP_2) | instid1(VALU_DEP_1)
	s_cmp_ge_i32 s27, s6
	s_waitcnt lgkmcnt(3)
	v_fmac_f32_e32 v22, v9, v24
	v_fmac_f32_e32 v22, v10, v25
	ds_load_2addr_b32 v[9:10], v17 offset0:192 offset1:224
	s_waitcnt lgkmcnt(3)
	v_fmac_f32_e32 v22, v32, v26
	s_delay_alu instid0(VALU_DEP_1) | instskip(SKIP_4) | instid1(VALU_DEP_1)
	v_fmac_f32_e32 v22, v33, v27
	ds_load_2addr_b32 v[32:33], v19 offset1:32
	ds_load_b128 v[24:27], v18 offset:32
	s_waitcnt lgkmcnt(3)
	v_fmac_f32_e32 v22, v34, v28
	v_fmac_f32_e32 v22, v35, v29
	ds_load_2addr_b32 v[34:35], v19 offset0:64 offset1:96
	s_waitcnt lgkmcnt(3)
	v_fmac_f32_e32 v22, v9, v30
	s_delay_alu instid0(VALU_DEP_1) | instskip(SKIP_4) | instid1(VALU_DEP_1)
	v_fmac_f32_e32 v22, v10, v31
	ds_load_b128 v[28:31], v18 offset:48
	ds_load_2addr_b32 v[9:10], v19 offset0:128 offset1:160
	s_waitcnt lgkmcnt(3)
	v_fmac_f32_e32 v22, v32, v24
	v_fmac_f32_e32 v22, v33, v25
	ds_load_2addr_b32 v[32:33], v19 offset0:192 offset1:224
	s_waitcnt lgkmcnt(3)
	v_fmac_f32_e32 v22, v34, v26
	s_delay_alu instid0(VALU_DEP_1) | instskip(SKIP_4) | instid1(VALU_DEP_1)
	v_fmac_f32_e32 v22, v35, v27
	ds_load_2addr_b32 v[34:35], v20 offset1:32
	ds_load_b128 v[24:27], v18 offset:64
	s_waitcnt lgkmcnt(3)
	v_fmac_f32_e32 v22, v9, v28
	v_fmac_f32_e32 v22, v10, v29
	ds_load_2addr_b32 v[9:10], v20 offset0:64 offset1:96
	s_waitcnt lgkmcnt(3)
	v_fmac_f32_e32 v22, v32, v30
	s_delay_alu instid0(VALU_DEP_1) | instskip(SKIP_4) | instid1(VALU_DEP_1)
	v_fmac_f32_e32 v22, v33, v31
	ds_load_2addr_b32 v[32:33], v20 offset0:128 offset1:160
	ds_load_b128 v[28:31], v18 offset:80
	s_waitcnt lgkmcnt(3)
	v_fmac_f32_e32 v22, v34, v24
	v_fmac_f32_e32 v22, v35, v25
	ds_load_2addr_b32 v[34:35], v20 offset0:192 offset1:224
	s_waitcnt lgkmcnt(3)
	v_fmac_f32_e32 v22, v9, v26
	s_delay_alu instid0(VALU_DEP_1) | instskip(SKIP_4) | instid1(VALU_DEP_1)
	v_fmac_f32_e32 v22, v10, v27
	ds_load_2addr_b32 v[9:10], v21 offset1:32
	ds_load_b128 v[24:27], v18 offset:96
	s_waitcnt lgkmcnt(3)
	v_fmac_f32_e32 v22, v32, v28
	v_fmac_f32_e32 v22, v33, v29
	ds_load_2addr_b32 v[32:33], v21 offset0:64 offset1:96
	s_waitcnt lgkmcnt(3)
	v_fmac_f32_e32 v22, v34, v30
	s_delay_alu instid0(VALU_DEP_1) | instskip(SKIP_4) | instid1(VALU_DEP_1)
	v_fmac_f32_e32 v22, v35, v31
	ds_load_2addr_b32 v[34:35], v21 offset0:128 offset1:160
	ds_load_b128 v[28:31], v18 offset:112
	s_waitcnt lgkmcnt(3)
	v_fmac_f32_e32 v22, v9, v24
	v_fmac_f32_e32 v22, v10, v25
	ds_load_2addr_b32 v[9:10], v21 offset0:192 offset1:224
	s_waitcnt lgkmcnt(0)
	s_barrier
	buffer_gl0_inv
	v_fmac_f32_e32 v22, v32, v26
	s_delay_alu instid0(VALU_DEP_1) | instskip(NEXT) | instid1(VALU_DEP_1)
	v_fmac_f32_e32 v22, v33, v27
	v_fmac_f32_e32 v22, v34, v28
	s_delay_alu instid0(VALU_DEP_1) | instskip(NEXT) | instid1(VALU_DEP_1)
	v_fmac_f32_e32 v22, v35, v29
	v_fmac_f32_e32 v22, v9, v30
	s_delay_alu instid0(VALU_DEP_1)
	v_fmac_f32_e32 v22, v10, v31
	s_cbranch_scc1 .LBB18_14
.LBB18_17:                              ;   Parent Loop BB18_12 Depth=1
                                        ;     Parent Loop BB18_15 Depth=2
                                        ; =>    This Inner Loop Header: Depth=3
	s_and_b32 vcc_lo, exec_lo, s7
	s_cbranch_vccz .LBB18_23
; %bb.18:                               ;   in Loop: Header=BB18_17 Depth=3
	s_mov_b32 s30, 0
	s_mov_b32 s29, 0
                                        ; implicit-def: $vgpr9_vgpr10
	s_and_saveexec_b32 s31, s0
	s_cbranch_execz .LBB18_22
; %bb.19:                               ;   in Loop: Header=BB18_17 Depth=3
	v_add_nc_u32_e32 v9, s27, v0
	s_delay_alu instid0(VALU_DEP_1) | instskip(SKIP_1) | instid1(SALU_CYCLE_1)
	v_cmp_gt_i32_e32 vcc_lo, s6, v9
                                        ; implicit-def: $vgpr9_vgpr10
	s_and_saveexec_b32 s33, vcc_lo
	s_xor_b32 s33, exec_lo, s33
; %bb.20:                               ;   in Loop: Header=BB18_17 Depth=3
	v_add_nc_u32_e32 v24, s27, v8
	s_mov_b32 s29, exec_lo
	s_delay_alu instid0(VALU_DEP_1) | instskip(SKIP_1) | instid1(VALU_DEP_2)
	v_ashrrev_i32_e32 v9, 31, v24
	v_mul_lo_u32 v25, v24, s11
	v_mul_lo_u32 v26, v9, s10
	v_mad_u64_u32 v[9:10], null, v24, s10, v[4:5]
	s_delay_alu instid0(VALU_DEP_1)
	v_add3_u32 v10, v26, v10, v25
; %bb.21:                               ;   in Loop: Header=BB18_17 Depth=3
	s_or_b32 exec_lo, exec_lo, s33
	s_delay_alu instid0(SALU_CYCLE_1)
	s_and_b32 s29, s29, exec_lo
.LBB18_22:                              ;   in Loop: Header=BB18_17 Depth=3
	s_or_b32 exec_lo, exec_lo, s31
	s_delay_alu instid0(SALU_CYCLE_1)
	s_and_b32 vcc_lo, exec_lo, s30
	s_cbranch_vccnz .LBB18_24
	s_branch .LBB18_29
.LBB18_23:                              ;   in Loop: Header=BB18_17 Depth=3
	s_mov_b32 s30, -1
	s_mov_b32 s29, 0
                                        ; implicit-def: $vgpr9_vgpr10
	s_cbranch_execz .LBB18_29
.LBB18_24:                              ;   in Loop: Header=BB18_17 Depth=3
                                        ; implicit-def: $vgpr9_vgpr10
	s_and_saveexec_b32 s30, s0
	s_cbranch_execz .LBB18_28
; %bb.25:                               ;   in Loop: Header=BB18_17 Depth=3
	v_add_nc_u32_e32 v9, s27, v0
	s_mov_b32 s33, s29
	s_delay_alu instid0(VALU_DEP_1)
	v_cmp_gt_i32_e32 vcc_lo, s6, v9
                                        ; implicit-def: $vgpr9_vgpr10
	s_and_saveexec_b32 s31, vcc_lo
; %bb.26:                               ;   in Loop: Header=BB18_17 Depth=3
	v_add_nc_u32_e32 v9, s27, v8
	s_or_b32 s33, s29, exec_lo
	s_delay_alu instid0(VALU_DEP_1) | instskip(SKIP_1) | instid1(VALU_DEP_2)
	v_ashrrev_i32_e32 v10, 31, v9
	v_add_co_u32 v9, vcc_lo, v2, v9
	v_add_co_ci_u32_e32 v10, vcc_lo, v3, v10, vcc_lo
; %bb.27:                               ;   in Loop: Header=BB18_17 Depth=3
	s_or_b32 exec_lo, exec_lo, s31
	s_delay_alu instid0(SALU_CYCLE_1) | instskip(SKIP_1) | instid1(SALU_CYCLE_1)
	s_and_not1_b32 s29, s29, exec_lo
	s_and_b32 s31, s33, exec_lo
	s_or_b32 s29, s29, s31
.LBB18_28:                              ;   in Loop: Header=BB18_17 Depth=3
	s_or_b32 exec_lo, exec_lo, s30
	s_mov_b32 s30, 0
.LBB18_29:                              ;   in Loop: Header=BB18_17 Depth=3
	s_delay_alu instid0(SALU_CYCLE_1)
	v_mov_b32_e32 v24, s30
	s_and_saveexec_b32 s30, s29
	s_cbranch_execnz .LBB18_37
; %bb.30:                               ;   in Loop: Header=BB18_17 Depth=3
	s_or_b32 exec_lo, exec_lo, s30
	s_delay_alu instid0(SALU_CYCLE_1)
	s_and_b32 vcc_lo, exec_lo, s9
	ds_store_b32 v12, v24
	s_cbranch_vccz .LBB18_38
.LBB18_31:                              ;   in Loop: Header=BB18_17 Depth=3
	s_mov_b32 s30, 0
	s_mov_b32 s29, 0
                                        ; implicit-def: $vgpr9
	s_and_saveexec_b32 s31, s1
	s_cbranch_execz .LBB18_35
; %bb.32:                               ;   in Loop: Header=BB18_17 Depth=3
	v_add_nc_u32_e32 v10, s27, v1
	s_mov_b32 s33, exec_lo
                                        ; implicit-def: $vgpr9
	s_delay_alu instid0(VALU_DEP_1)
	v_cmpx_gt_i32_e64 s6, v10
	s_xor_b32 s33, exec_lo, s33
; %bb.33:                               ;   in Loop: Header=BB18_17 Depth=3
	v_add_nc_u32_e32 v24, s3, v10
	s_mov_b32 s29, exec_lo
	s_delay_alu instid0(VALU_DEP_1)
	v_mad_u64_u32 v[9:10], null, v24, s6, v[7:8]
; %bb.34:                               ;   in Loop: Header=BB18_17 Depth=3
	s_or_b32 exec_lo, exec_lo, s33
	s_delay_alu instid0(SALU_CYCLE_1)
	s_and_b32 s29, s29, exec_lo
.LBB18_35:                              ;   in Loop: Header=BB18_17 Depth=3
	s_or_b32 exec_lo, exec_lo, s31
	s_delay_alu instid0(SALU_CYCLE_1)
	s_and_b32 vcc_lo, exec_lo, s30
	s_cbranch_vccnz .LBB18_39
.LBB18_36:                              ;   in Loop: Header=BB18_17 Depth=3
	v_mov_b32_e32 v10, s30
	s_and_saveexec_b32 s30, s29
	s_cbranch_execz .LBB18_16
	s_branch .LBB18_44
.LBB18_37:                              ;   in Loop: Header=BB18_17 Depth=3
	global_load_i8 v9, v[9:10], off
	s_waitcnt vmcnt(0)
	v_cvt_f32_i32_e32 v24, v9
	s_or_b32 exec_lo, exec_lo, s30
	s_delay_alu instid0(SALU_CYCLE_1)
	s_and_b32 vcc_lo, exec_lo, s9
	ds_store_b32 v12, v24
	s_cbranch_vccnz .LBB18_31
.LBB18_38:                              ;   in Loop: Header=BB18_17 Depth=3
	s_mov_b32 s30, -1
	s_mov_b32 s29, 0
                                        ; implicit-def: $vgpr9
	s_cbranch_execz .LBB18_36
.LBB18_39:                              ;   in Loop: Header=BB18_17 Depth=3
                                        ; implicit-def: $vgpr9
	s_and_saveexec_b32 s30, s1
	s_cbranch_execz .LBB18_43
; %bb.40:                               ;   in Loop: Header=BB18_17 Depth=3
	v_add_nc_u32_e32 v9, s27, v1
	s_mov_b32 s31, s29
	s_delay_alu instid0(VALU_DEP_1)
	v_cmp_gt_i32_e32 vcc_lo, s6, v9
                                        ; implicit-def: $vgpr9
	s_and_saveexec_b32 s33, vcc_lo
; %bb.41:                               ;   in Loop: Header=BB18_17 Depth=3
	v_add_nc_u32_e32 v9, s27, v23
	s_or_b32 s31, s29, exec_lo
; %bb.42:                               ;   in Loop: Header=BB18_17 Depth=3
	s_or_b32 exec_lo, exec_lo, s33
	s_delay_alu instid0(SALU_CYCLE_1) | instskip(SKIP_1) | instid1(SALU_CYCLE_1)
	s_and_not1_b32 s29, s29, exec_lo
	s_and_b32 s31, s31, exec_lo
	s_or_b32 s29, s29, s31
.LBB18_43:                              ;   in Loop: Header=BB18_17 Depth=3
	s_or_b32 exec_lo, exec_lo, s30
	s_mov_b32 s30, 0
	s_delay_alu instid0(SALU_CYCLE_1)
	v_mov_b32_e32 v10, s30
	s_and_saveexec_b32 s30, s29
	s_cbranch_execz .LBB18_16
.LBB18_44:                              ;   in Loop: Header=BB18_17 Depth=3
	v_ashrrev_i32_e32 v10, 31, v9
	v_add_co_u32 v9, vcc_lo, s22, v9
	s_delay_alu instid0(VALU_DEP_2)
	v_add_co_ci_u32_e32 v10, vcc_lo, s23, v10, vcc_lo
	global_load_i8 v9, v[9:10], off
	s_waitcnt vmcnt(0)
	v_cvt_f32_i32_e32 v10, v9
	s_branch .LBB18_16
.LBB18_45:                              ;   in Loop: Header=BB18_12 Depth=1
	v_cmp_gt_i32_e32 vcc_lo, s6, v7
	s_and_b32 s2, s25, vcc_lo
	s_delay_alu instid0(SALU_CYCLE_1)
	s_and_saveexec_b32 s1, s2
	s_cbranch_execz .LBB18_11
; %bb.46:                               ;   in Loop: Header=BB18_12 Depth=1
	v_add_nc_u32_e32 v7, s14, v7
	s_and_b32 vcc_lo, exec_lo, s26
	s_delay_alu instid0(VALU_DEP_1)
	v_ashrrev_i32_e32 v8, 31, v7
	s_cbranch_vccz .LBB18_52
; %bb.47:                               ;   in Loop: Header=BB18_12 Depth=1
	s_and_b32 vcc_lo, exec_lo, s4
	s_mov_b32 s2, -1
	s_cbranch_vccz .LBB18_49
; %bb.48:                               ;   in Loop: Header=BB18_12 Depth=1
	v_mul_lo_u32 v23, v8, s18
	v_mul_lo_u32 v24, v7, s19
	v_mad_u64_u32 v[9:10], null, v7, s18, 0
	s_mov_b32 s2, 0
	s_delay_alu instid0(VALU_DEP_1) | instskip(SKIP_1) | instid1(VALU_DEP_2)
	v_add3_u32 v10, v10, v24, v23
	v_mul_f32_e32 v24, s12, v22
	v_lshlrev_b64 v[9:10], 2, v[9:10]
	s_delay_alu instid0(VALU_DEP_1) | instskip(NEXT) | instid1(VALU_DEP_2)
	v_add_co_u32 v9, vcc_lo, v13, v9
	v_add_co_ci_u32_e32 v10, vcc_lo, v14, v10, vcc_lo
	global_load_b32 v23, v[9:10], off
	s_waitcnt vmcnt(0)
	v_fmac_f32_e32 v24, s28, v23
	global_store_b32 v[9:10], v24, off
.LBB18_49:                              ;   in Loop: Header=BB18_12 Depth=1
	s_and_not1_b32 vcc_lo, exec_lo, s2
	s_cbranch_vccnz .LBB18_51
; %bb.50:                               ;   in Loop: Header=BB18_12 Depth=1
	v_lshlrev_b64 v[9:10], 2, v[7:8]
	v_mul_f32_e32 v24, s12, v22
	s_delay_alu instid0(VALU_DEP_2) | instskip(NEXT) | instid1(VALU_DEP_3)
	v_add_co_u32 v9, vcc_lo, v15, v9
	v_add_co_ci_u32_e32 v10, vcc_lo, v16, v10, vcc_lo
	global_load_b32 v23, v[9:10], off
	s_waitcnt vmcnt(0)
	v_fmac_f32_e32 v24, s28, v23
	global_store_b32 v[9:10], v24, off
.LBB18_51:                              ;   in Loop: Header=BB18_12 Depth=1
	s_cbranch_execnz .LBB18_11
	s_branch .LBB18_53
.LBB18_52:                              ;   in Loop: Header=BB18_12 Depth=1
.LBB18_53:                              ;   in Loop: Header=BB18_12 Depth=1
	v_mul_f32_e32 v9, s12, v22
	s_and_b32 vcc_lo, exec_lo, s4
	s_mov_b32 s2, -1
	s_cbranch_vccz .LBB18_55
; %bb.54:                               ;   in Loop: Header=BB18_12 Depth=1
	v_mul_lo_u32 v10, v8, s18
	v_mul_lo_u32 v24, v7, s19
	v_mad_u64_u32 v[22:23], null, v7, s18, 0
	s_mov_b32 s2, 0
	s_delay_alu instid0(VALU_DEP_1) | instskip(NEXT) | instid1(VALU_DEP_1)
	v_add3_u32 v23, v23, v24, v10
	v_lshlrev_b64 v[22:23], 2, v[22:23]
	s_delay_alu instid0(VALU_DEP_1) | instskip(NEXT) | instid1(VALU_DEP_2)
	v_add_co_u32 v22, vcc_lo, v13, v22
	v_add_co_ci_u32_e32 v23, vcc_lo, v14, v23, vcc_lo
	global_store_b32 v[22:23], v9, off
.LBB18_55:                              ;   in Loop: Header=BB18_12 Depth=1
	s_and_not1_b32 vcc_lo, exec_lo, s2
	s_cbranch_vccnz .LBB18_11
; %bb.56:                               ;   in Loop: Header=BB18_12 Depth=1
	v_lshlrev_b64 v[7:8], 2, v[7:8]
	s_delay_alu instid0(VALU_DEP_1) | instskip(NEXT) | instid1(VALU_DEP_2)
	v_add_co_u32 v7, vcc_lo, v15, v7
	v_add_co_ci_u32_e32 v8, vcc_lo, v16, v8, vcc_lo
	global_store_b32 v[7:8], v9, off
	s_branch .LBB18_11
.LBB18_57:
	s_nop 0
	s_sendmsg sendmsg(MSG_DEALLOC_VGPRS)
	s_endpgm
	.section	.rodata,"a",@progbits
	.p2align	6, 0x0
	.amdhsa_kernel _ZN9rocsparseL29bsrmm_general_blockdim_kernelILj32ELj32EiiaaffEEvb20rocsparse_direction_T2_S2_llNS_24const_host_device_scalarIT6_EEPKT1_PKS2_PKT3_S2_PKT4_llS5_PT5_ll16rocsparse_order_21rocsparse_index_base_b
		.amdhsa_group_segment_fixed_size 8192
		.amdhsa_private_segment_fixed_size 0
		.amdhsa_kernarg_size 140
		.amdhsa_user_sgpr_count 14
		.amdhsa_user_sgpr_dispatch_ptr 0
		.amdhsa_user_sgpr_queue_ptr 0
		.amdhsa_user_sgpr_kernarg_segment_ptr 1
		.amdhsa_user_sgpr_dispatch_id 0
		.amdhsa_user_sgpr_private_segment_size 0
		.amdhsa_wavefront_size32 1
		.amdhsa_uses_dynamic_stack 0
		.amdhsa_enable_private_segment 0
		.amdhsa_system_sgpr_workgroup_id_x 1
		.amdhsa_system_sgpr_workgroup_id_y 1
		.amdhsa_system_sgpr_workgroup_id_z 0
		.amdhsa_system_sgpr_workgroup_info 0
		.amdhsa_system_vgpr_workitem_id 1
		.amdhsa_next_free_vgpr 36
		.amdhsa_next_free_sgpr 34
		.amdhsa_reserve_vcc 1
		.amdhsa_float_round_mode_32 0
		.amdhsa_float_round_mode_16_64 0
		.amdhsa_float_denorm_mode_32 3
		.amdhsa_float_denorm_mode_16_64 3
		.amdhsa_dx10_clamp 1
		.amdhsa_ieee_mode 1
		.amdhsa_fp16_overflow 0
		.amdhsa_workgroup_processor_mode 1
		.amdhsa_memory_ordered 1
		.amdhsa_forward_progress 0
		.amdhsa_shared_vgpr_count 0
		.amdhsa_exception_fp_ieee_invalid_op 0
		.amdhsa_exception_fp_denorm_src 0
		.amdhsa_exception_fp_ieee_div_zero 0
		.amdhsa_exception_fp_ieee_overflow 0
		.amdhsa_exception_fp_ieee_underflow 0
		.amdhsa_exception_fp_ieee_inexact 0
		.amdhsa_exception_int_div_zero 0
	.end_amdhsa_kernel
	.section	.text._ZN9rocsparseL29bsrmm_general_blockdim_kernelILj32ELj32EiiaaffEEvb20rocsparse_direction_T2_S2_llNS_24const_host_device_scalarIT6_EEPKT1_PKS2_PKT3_S2_PKT4_llS5_PT5_ll16rocsparse_order_21rocsparse_index_base_b,"axG",@progbits,_ZN9rocsparseL29bsrmm_general_blockdim_kernelILj32ELj32EiiaaffEEvb20rocsparse_direction_T2_S2_llNS_24const_host_device_scalarIT6_EEPKT1_PKS2_PKT3_S2_PKT4_llS5_PT5_ll16rocsparse_order_21rocsparse_index_base_b,comdat
.Lfunc_end18:
	.size	_ZN9rocsparseL29bsrmm_general_blockdim_kernelILj32ELj32EiiaaffEEvb20rocsparse_direction_T2_S2_llNS_24const_host_device_scalarIT6_EEPKT1_PKS2_PKT3_S2_PKT4_llS5_PT5_ll16rocsparse_order_21rocsparse_index_base_b, .Lfunc_end18-_ZN9rocsparseL29bsrmm_general_blockdim_kernelILj32ELj32EiiaaffEEvb20rocsparse_direction_T2_S2_llNS_24const_host_device_scalarIT6_EEPKT1_PKS2_PKT3_S2_PKT4_llS5_PT5_ll16rocsparse_order_21rocsparse_index_base_b
                                        ; -- End function
	.section	.AMDGPU.csdata,"",@progbits
; Kernel info:
; codeLenInByte = 2152
; NumSgprs: 36
; NumVgprs: 36
; ScratchSize: 0
; MemoryBound: 0
; FloatMode: 240
; IeeeMode: 1
; LDSByteSize: 8192 bytes/workgroup (compile time only)
; SGPRBlocks: 4
; VGPRBlocks: 4
; NumSGPRsForWavesPerEU: 36
; NumVGPRsForWavesPerEU: 36
; Occupancy: 16
; WaveLimiterHint : 0
; COMPUTE_PGM_RSRC2:SCRATCH_EN: 0
; COMPUTE_PGM_RSRC2:USER_SGPR: 14
; COMPUTE_PGM_RSRC2:TRAP_HANDLER: 0
; COMPUTE_PGM_RSRC2:TGID_X_EN: 1
; COMPUTE_PGM_RSRC2:TGID_Y_EN: 1
; COMPUTE_PGM_RSRC2:TGID_Z_EN: 0
; COMPUTE_PGM_RSRC2:TIDIG_COMP_CNT: 1
	.section	.text._ZN9rocsparseL29bsrmm_general_blockdim_kernelILj32ELj32EliaaffEEvb20rocsparse_direction_T2_S2_llNS_24const_host_device_scalarIT6_EEPKT1_PKS2_PKT3_S2_PKT4_llS5_PT5_ll16rocsparse_order_21rocsparse_index_base_b,"axG",@progbits,_ZN9rocsparseL29bsrmm_general_blockdim_kernelILj32ELj32EliaaffEEvb20rocsparse_direction_T2_S2_llNS_24const_host_device_scalarIT6_EEPKT1_PKS2_PKT3_S2_PKT4_llS5_PT5_ll16rocsparse_order_21rocsparse_index_base_b,comdat
	.globl	_ZN9rocsparseL29bsrmm_general_blockdim_kernelILj32ELj32EliaaffEEvb20rocsparse_direction_T2_S2_llNS_24const_host_device_scalarIT6_EEPKT1_PKS2_PKT3_S2_PKT4_llS5_PT5_ll16rocsparse_order_21rocsparse_index_base_b ; -- Begin function _ZN9rocsparseL29bsrmm_general_blockdim_kernelILj32ELj32EliaaffEEvb20rocsparse_direction_T2_S2_llNS_24const_host_device_scalarIT6_EEPKT1_PKS2_PKT3_S2_PKT4_llS5_PT5_ll16rocsparse_order_21rocsparse_index_base_b
	.p2align	8
	.type	_ZN9rocsparseL29bsrmm_general_blockdim_kernelILj32ELj32EliaaffEEvb20rocsparse_direction_T2_S2_llNS_24const_host_device_scalarIT6_EEPKT1_PKS2_PKT3_S2_PKT4_llS5_PT5_ll16rocsparse_order_21rocsparse_index_base_b,@function
_ZN9rocsparseL29bsrmm_general_blockdim_kernelILj32ELj32EliaaffEEvb20rocsparse_direction_T2_S2_llNS_24const_host_device_scalarIT6_EEPKT1_PKS2_PKT3_S2_PKT4_llS5_PT5_ll16rocsparse_order_21rocsparse_index_base_b: ; @_ZN9rocsparseL29bsrmm_general_blockdim_kernelILj32ELj32EliaaffEEvb20rocsparse_direction_T2_S2_llNS_24const_host_device_scalarIT6_EEPKT1_PKS2_PKT3_S2_PKT4_llS5_PT5_ll16rocsparse_order_21rocsparse_index_base_b
; %bb.0:
	s_clause 0x2
	s_load_b128 s[4:7], s[0:1], 0x80
	s_load_b64 s[12:13], s[0:1], 0x20
	s_load_b64 s[28:29], s[0:1], 0x60
	s_mov_b32 s2, s15
	s_waitcnt lgkmcnt(0)
	s_bitcmp1_b32 s6, 0
	s_cselect_b32 s3, -1, 0
	s_delay_alu instid0(SALU_CYCLE_1)
	s_and_b32 vcc_lo, exec_lo, s3
	s_xor_b32 s3, s3, -1
	s_cbranch_vccnz .LBB19_2
; %bb.1:
	s_load_b32 s12, s[12:13], 0x0
.LBB19_2:
	s_and_not1_b32 vcc_lo, exec_lo, s3
	s_cbranch_vccnz .LBB19_4
; %bb.3:
	s_load_b32 s28, s[28:29], 0x0
.LBB19_4:
	s_waitcnt lgkmcnt(0)
	v_cmp_eq_f32_e64 s3, s12, 0
	v_cmp_eq_f32_e64 s6, s28, 1.0
	s_delay_alu instid0(VALU_DEP_1) | instskip(NEXT) | instid1(SALU_CYCLE_1)
	s_and_b32 s3, s3, s6
	s_and_b32 vcc_lo, exec_lo, s3
	s_cbranch_vccnz .LBB19_53
; %bb.5:
	s_clause 0x1
	s_load_b128 s[24:27], s[0:1], 0x0
	s_load_b64 s[8:9], s[0:1], 0x28
	s_mov_b64 s[6:7], 0
	s_mov_b64 s[30:31], 0
	s_waitcnt lgkmcnt(0)
	s_cmp_lt_i32 s14, s26
	s_cselect_b32 s3, -1, 0
	s_cmp_ge_i32 s14, s26
	s_cbranch_scc0 .LBB19_8
; %bb.6:
	s_and_not1_b32 vcc_lo, exec_lo, s3
	s_cbranch_vccz .LBB19_9
.LBB19_7:
	s_load_b32 s13, s[0:1], 0x40
	s_waitcnt lgkmcnt(0)
	s_cmp_lt_i32 s13, 1
	s_cbranch_scc0 .LBB19_10
	s_branch .LBB19_53
.LBB19_8:
	s_ashr_i32 s15, s14, 31
	s_delay_alu instid0(SALU_CYCLE_1) | instskip(NEXT) | instid1(SALU_CYCLE_1)
	s_lshl_b64 s[10:11], s[14:15], 3
	s_add_u32 s10, s8, s10
	s_addc_u32 s11, s9, s11
	s_load_b64 s[10:11], s[10:11], 0x0
	s_waitcnt lgkmcnt(0)
	s_sub_u32 s30, s10, s5
	s_subb_u32 s31, s11, 0
	s_and_not1_b32 vcc_lo, exec_lo, s3
	s_cbranch_vccnz .LBB19_7
.LBB19_9:
	s_ashr_i32 s15, s14, 31
	s_delay_alu instid0(SALU_CYCLE_1) | instskip(NEXT) | instid1(SALU_CYCLE_1)
	s_lshl_b64 s[6:7], s[14:15], 3
	s_add_u32 s6, s8, s6
	s_addc_u32 s7, s9, s7
	s_load_b64 s[6:7], s[6:7], 0x8
	s_waitcnt lgkmcnt(0)
	s_sub_u32 s6, s6, s5
	s_subb_u32 s7, s7, 0
	s_load_b32 s13, s[0:1], 0x40
	s_waitcnt lgkmcnt(0)
	s_cmp_lt_i32 s13, 1
	s_cbranch_scc1 .LBB19_53
.LBB19_10:
	s_clause 0x1
	s_load_b128 s[8:11], s[0:1], 0x48
	s_load_b128 s[16:19], s[0:1], 0x68
	v_bfe_u32 v8, v0, 10, 10
	v_and_b32_e32 v0, 0x3ff, v0
	s_load_b128 s[20:23], s[0:1], 0x30
	s_bitcmp1_b32 s24, 0
	s_mul_i32 s14, s14, s13
	v_lshl_add_u32 v5, s2, 5, v8
	v_lshlrev_b32_e32 v1, 5, v8
	s_cselect_b32 s0, -1, 0
	v_lshl_add_u32 v16, v8, 7, 0x1000
	s_xor_b32 s24, s0, -1
	v_ashrrev_i32_e32 v6, 31, v5
	v_add_lshl_u32 v9, v1, v0, 2
	v_cmp_gt_i32_e64 s0, s27, v5
	s_cmp_lg_u32 s25, 0
	v_cmp_neq_f32_e64 s25, s28, 0
	s_mov_b32 s15, 0
	v_add_nc_u32_e32 v10, 0x1000, v9
	s_waitcnt lgkmcnt(0)
	v_mul_lo_u32 v7, v6, s10
	v_mul_lo_u32 v14, v6, s18
	;; [unrolled: 1-line block ×3, first 2 shown]
	v_mad_u64_u32 v[11:12], null, v5, s18, 0
	v_mul_lo_u32 v13, v5, s11
	v_mad_u64_u32 v[1:2], null, v5, s10, s[8:9]
	v_add_co_u32 v3, vcc_lo, s8, v5
	v_add_co_ci_u32_e32 v4, vcc_lo, s9, v6, vcc_lo
	v_add3_u32 v12, v12, v15, v14
	v_lshlrev_b64 v[5:6], 2, v[5:6]
	v_add3_u32 v2, v7, v2, v13
	v_lshlrev_b32_e32 v13, 2, v0
	s_cselect_b32 s8, -1, 0
	v_lshlrev_b64 v[14:15], 2, v[11:12]
	s_and_b32 s9, s3, s0
	v_add_co_u32 v11, vcc_lo, s16, v5
	v_add_co_ci_u32_e32 v12, vcc_lo, s17, v6, vcc_lo
	s_delay_alu instid0(VALU_DEP_3)
	v_add_co_u32 v14, vcc_lo, s16, v14
	v_cmp_lt_i64_e64 s16, s[30:31], s[6:7]
	v_add_co_ci_u32_e32 v15, vcc_lo, s17, v15, vcc_lo
	v_add_nc_u32_e32 v17, 0x400, v13
	v_add_nc_u32_e32 v18, 0x800, v13
	;; [unrolled: 1-line block ×3, first 2 shown]
	s_cmp_lg_u32 s4, 1
	s_mul_i32 s4, s13, s13
	s_cselect_b32 s17, -1, 0
	s_branch .LBB19_12
.LBB19_11:                              ;   in Loop: Header=BB19_12 Depth=1
	s_or_b32 exec_lo, exec_lo, s1
	s_add_i32 s15, s15, 32
	s_delay_alu instid0(SALU_CYCLE_1)
	s_cmp_lt_i32 s15, s13
	s_cbranch_scc0 .LBB19_53
.LBB19_12:                              ; =>This Loop Header: Depth=1
                                        ;     Child Loop BB19_15 Depth 2
                                        ;       Child Loop BB19_17 Depth 3
	v_dual_mov_b32 v20, 0 :: v_dual_add_nc_u32 v21, s15, v0
	s_and_not1_b32 vcc_lo, exec_lo, s16
	s_delay_alu instid0(VALU_DEP_1)
	v_cmp_gt_i32_e64 s1, s13, v21
	s_cbranch_vccnz .LBB19_41
; %bb.13:                               ;   in Loop: Header=BB19_12 Depth=1
	v_mul_lo_u32 v22, v21, s13
	v_mov_b32_e32 v20, 0
	s_mov_b64 s[2:3], s[30:31]
	s_branch .LBB19_15
.LBB19_14:                              ;   in Loop: Header=BB19_15 Depth=2
	s_add_u32 s2, s2, 1
	s_addc_u32 s3, s3, 0
	s_delay_alu instid0(SALU_CYCLE_1) | instskip(NEXT) | instid1(VALU_DEP_1)
	v_cmp_ge_i64_e64 s26, s[2:3], s[6:7]
	s_and_b32 vcc_lo, exec_lo, s26
	s_cbranch_vccnz .LBB19_41
.LBB19_15:                              ;   Parent Loop BB19_12 Depth=1
                                        ; =>  This Loop Header: Depth=2
                                        ;       Child Loop BB19_17 Depth 3
	s_lshl_b64 s[26:27], s[2:3], 2
	s_mul_i32 s29, s2, s4
	s_add_u32 s26, s20, s26
	s_addc_u32 s27, s21, s27
	s_load_b32 s26, s[26:27], 0x0
	s_mul_i32 s27, s3, s4
	s_waitcnt lgkmcnt(0)
	s_sub_i32 s26, s26, s5
	s_delay_alu instid0(SALU_CYCLE_1) | instskip(SKIP_1) | instid1(SALU_CYCLE_1)
	v_mad_u64_u32 v[5:6], null, s26, s13, v[0:1]
	s_mul_hi_u32 s26, s2, s4
	s_add_i32 s27, s26, s27
	s_add_u32 s26, s22, s29
	s_addc_u32 s27, s23, s27
	s_mov_b32 s29, 0
	s_branch .LBB19_17
.LBB19_16:                              ;   in Loop: Header=BB19_17 Depth=3
	s_or_b32 exec_lo, exec_lo, s33
	ds_store_b32 v9, v23
	s_waitcnt lgkmcnt(0)
	s_waitcnt_vscnt null, 0x0
	s_barrier
	buffer_gl0_inv
	ds_load_2addr_b32 v[6:7], v13 offset1:32
	ds_load_b128 v[23:26], v16
	ds_load_2addr_b32 v[31:32], v13 offset0:64 offset1:96
	ds_load_b128 v[27:30], v16 offset:16
	ds_load_2addr_b32 v[33:34], v13 offset0:128 offset1:160
	s_add_i32 s29, s29, 32
	s_delay_alu instid0(SALU_CYCLE_1) | instskip(SKIP_2) | instid1(VALU_DEP_1)
	s_cmp_ge_i32 s29, s13
	s_waitcnt lgkmcnt(3)
	v_fmac_f32_e32 v20, v6, v23
	v_fmac_f32_e32 v20, v7, v24
	ds_load_2addr_b32 v[6:7], v13 offset0:192 offset1:224
	s_waitcnt lgkmcnt(3)
	v_fmac_f32_e32 v20, v31, v25
	s_delay_alu instid0(VALU_DEP_1) | instskip(SKIP_4) | instid1(VALU_DEP_1)
	v_fmac_f32_e32 v20, v32, v26
	ds_load_2addr_b32 v[31:32], v17 offset1:32
	ds_load_b128 v[23:26], v16 offset:32
	s_waitcnt lgkmcnt(3)
	v_fmac_f32_e32 v20, v33, v27
	v_fmac_f32_e32 v20, v34, v28
	ds_load_2addr_b32 v[33:34], v17 offset0:64 offset1:96
	s_waitcnt lgkmcnt(3)
	v_fmac_f32_e32 v20, v6, v29
	s_delay_alu instid0(VALU_DEP_1) | instskip(SKIP_4) | instid1(VALU_DEP_1)
	v_fmac_f32_e32 v20, v7, v30
	ds_load_b128 v[27:30], v16 offset:48
	ds_load_2addr_b32 v[6:7], v17 offset0:128 offset1:160
	s_waitcnt lgkmcnt(3)
	v_fmac_f32_e32 v20, v31, v23
	v_fmac_f32_e32 v20, v32, v24
	ds_load_2addr_b32 v[31:32], v17 offset0:192 offset1:224
	s_waitcnt lgkmcnt(3)
	v_fmac_f32_e32 v20, v33, v25
	s_delay_alu instid0(VALU_DEP_1) | instskip(SKIP_4) | instid1(VALU_DEP_1)
	v_fmac_f32_e32 v20, v34, v26
	ds_load_2addr_b32 v[33:34], v18 offset1:32
	ds_load_b128 v[23:26], v16 offset:64
	s_waitcnt lgkmcnt(3)
	v_fmac_f32_e32 v20, v6, v27
	v_fmac_f32_e32 v20, v7, v28
	ds_load_2addr_b32 v[6:7], v18 offset0:64 offset1:96
	s_waitcnt lgkmcnt(3)
	v_fmac_f32_e32 v20, v31, v29
	s_delay_alu instid0(VALU_DEP_1) | instskip(SKIP_4) | instid1(VALU_DEP_1)
	v_fmac_f32_e32 v20, v32, v30
	ds_load_2addr_b32 v[31:32], v18 offset0:128 offset1:160
	ds_load_b128 v[27:30], v16 offset:80
	s_waitcnt lgkmcnt(3)
	v_fmac_f32_e32 v20, v33, v23
	v_fmac_f32_e32 v20, v34, v24
	ds_load_2addr_b32 v[33:34], v18 offset0:192 offset1:224
	s_waitcnt lgkmcnt(3)
	v_fmac_f32_e32 v20, v6, v25
	s_delay_alu instid0(VALU_DEP_1) | instskip(SKIP_4) | instid1(VALU_DEP_1)
	v_fmac_f32_e32 v20, v7, v26
	ds_load_2addr_b32 v[6:7], v19 offset1:32
	ds_load_b128 v[23:26], v16 offset:96
	s_waitcnt lgkmcnt(3)
	v_fmac_f32_e32 v20, v31, v27
	v_fmac_f32_e32 v20, v32, v28
	ds_load_2addr_b32 v[31:32], v19 offset0:64 offset1:96
	s_waitcnt lgkmcnt(3)
	v_fmac_f32_e32 v20, v33, v29
	s_delay_alu instid0(VALU_DEP_1) | instskip(SKIP_4) | instid1(VALU_DEP_1)
	v_fmac_f32_e32 v20, v34, v30
	ds_load_2addr_b32 v[33:34], v19 offset0:128 offset1:160
	ds_load_b128 v[27:30], v16 offset:112
	s_waitcnt lgkmcnt(3)
	v_fmac_f32_e32 v20, v6, v23
	v_fmac_f32_e32 v20, v7, v24
	ds_load_2addr_b32 v[6:7], v19 offset0:192 offset1:224
	s_waitcnt lgkmcnt(0)
	s_barrier
	buffer_gl0_inv
	v_fmac_f32_e32 v20, v31, v25
	s_delay_alu instid0(VALU_DEP_1) | instskip(NEXT) | instid1(VALU_DEP_1)
	v_fmac_f32_e32 v20, v32, v26
	v_fmac_f32_e32 v20, v33, v27
	s_delay_alu instid0(VALU_DEP_1) | instskip(NEXT) | instid1(VALU_DEP_1)
	v_fmac_f32_e32 v20, v34, v28
	v_fmac_f32_e32 v20, v6, v29
	s_delay_alu instid0(VALU_DEP_1)
	v_fmac_f32_e32 v20, v7, v30
	s_cbranch_scc1 .LBB19_14
.LBB19_17:                              ;   Parent Loop BB19_12 Depth=1
                                        ;     Parent Loop BB19_15 Depth=2
                                        ; =>    This Inner Loop Header: Depth=3
	s_and_b32 vcc_lo, exec_lo, s24
	s_cbranch_vccz .LBB19_23
; %bb.18:                               ;   in Loop: Header=BB19_17 Depth=3
	s_mov_b32 s34, 0
	s_mov_b32 s33, 0
                                        ; implicit-def: $vgpr6_vgpr7
	s_and_saveexec_b32 s35, s0
	s_cbranch_execz .LBB19_22
; %bb.19:                               ;   in Loop: Header=BB19_17 Depth=3
	v_add_nc_u32_e32 v6, s29, v0
	s_delay_alu instid0(VALU_DEP_1) | instskip(SKIP_1) | instid1(SALU_CYCLE_1)
	v_cmp_gt_i32_e32 vcc_lo, s13, v6
                                        ; implicit-def: $vgpr6_vgpr7
	s_and_saveexec_b32 s36, vcc_lo
	s_xor_b32 s36, exec_lo, s36
; %bb.20:                               ;   in Loop: Header=BB19_17 Depth=3
	v_add_nc_u32_e32 v23, s29, v5
	s_mov_b32 s33, exec_lo
	s_delay_alu instid0(VALU_DEP_1) | instskip(SKIP_1) | instid1(VALU_DEP_2)
	v_ashrrev_i32_e32 v6, 31, v23
	v_mul_lo_u32 v24, v23, s11
	v_mul_lo_u32 v25, v6, s10
	v_mad_u64_u32 v[6:7], null, v23, s10, v[3:4]
	s_delay_alu instid0(VALU_DEP_1)
	v_add3_u32 v7, v25, v7, v24
; %bb.21:                               ;   in Loop: Header=BB19_17 Depth=3
	s_or_b32 exec_lo, exec_lo, s36
	s_delay_alu instid0(SALU_CYCLE_1)
	s_and_b32 s33, s33, exec_lo
.LBB19_22:                              ;   in Loop: Header=BB19_17 Depth=3
	s_or_b32 exec_lo, exec_lo, s35
	s_delay_alu instid0(SALU_CYCLE_1)
	s_and_b32 vcc_lo, exec_lo, s34
	s_cbranch_vccnz .LBB19_24
	s_branch .LBB19_29
.LBB19_23:                              ;   in Loop: Header=BB19_17 Depth=3
	s_mov_b32 s34, -1
	s_mov_b32 s33, 0
                                        ; implicit-def: $vgpr6_vgpr7
	s_cbranch_execz .LBB19_29
.LBB19_24:                              ;   in Loop: Header=BB19_17 Depth=3
                                        ; implicit-def: $vgpr6_vgpr7
	s_and_saveexec_b32 s34, s0
	s_cbranch_execz .LBB19_28
; %bb.25:                               ;   in Loop: Header=BB19_17 Depth=3
	v_add_nc_u32_e32 v6, s29, v0
	s_mov_b32 s36, s33
	s_delay_alu instid0(VALU_DEP_1)
	v_cmp_gt_i32_e32 vcc_lo, s13, v6
                                        ; implicit-def: $vgpr6_vgpr7
	s_and_saveexec_b32 s35, vcc_lo
; %bb.26:                               ;   in Loop: Header=BB19_17 Depth=3
	v_add_nc_u32_e32 v6, s29, v5
	s_or_b32 s36, s33, exec_lo
	s_delay_alu instid0(VALU_DEP_1) | instskip(SKIP_1) | instid1(VALU_DEP_2)
	v_ashrrev_i32_e32 v7, 31, v6
	v_add_co_u32 v6, vcc_lo, v1, v6
	v_add_co_ci_u32_e32 v7, vcc_lo, v2, v7, vcc_lo
; %bb.27:                               ;   in Loop: Header=BB19_17 Depth=3
	s_or_b32 exec_lo, exec_lo, s35
	s_delay_alu instid0(SALU_CYCLE_1) | instskip(SKIP_1) | instid1(SALU_CYCLE_1)
	s_and_not1_b32 s33, s33, exec_lo
	s_and_b32 s35, s36, exec_lo
	s_or_b32 s33, s33, s35
.LBB19_28:                              ;   in Loop: Header=BB19_17 Depth=3
	s_or_b32 exec_lo, exec_lo, s34
	s_mov_b32 s34, 0
.LBB19_29:                              ;   in Loop: Header=BB19_17 Depth=3
	s_delay_alu instid0(SALU_CYCLE_1)
	v_mov_b32_e32 v23, s34
	s_and_saveexec_b32 s34, s33
	s_cbranch_execnz .LBB19_39
; %bb.30:                               ;   in Loop: Header=BB19_17 Depth=3
	s_or_b32 exec_lo, exec_lo, s34
	s_delay_alu instid0(SALU_CYCLE_1)
	s_and_b32 vcc_lo, exec_lo, s8
	ds_store_b32 v10, v23
	s_cbranch_vccz .LBB19_40
.LBB19_31:                              ;   in Loop: Header=BB19_17 Depth=3
	s_mov_b32 s33, 0
	s_mov_b32 s34, 0
                                        ; implicit-def: $vgpr6
	s_and_saveexec_b32 s35, s1
	s_cbranch_execz .LBB19_35
; %bb.32:                               ;   in Loop: Header=BB19_17 Depth=3
	v_add_nc_u32_e32 v7, s29, v8
	s_mov_b32 s36, exec_lo
                                        ; implicit-def: $vgpr6
	s_delay_alu instid0(VALU_DEP_1)
	v_cmpx_gt_i32_e64 s13, v7
	s_xor_b32 s36, exec_lo, s36
; %bb.33:                               ;   in Loop: Header=BB19_17 Depth=3
	s_mov_b32 s34, exec_lo
	v_mul_lo_u32 v6, v7, s13
; %bb.34:                               ;   in Loop: Header=BB19_17 Depth=3
	s_or_b32 exec_lo, exec_lo, s36
	s_delay_alu instid0(SALU_CYCLE_1)
	s_and_b32 s34, s34, exec_lo
.LBB19_35:                              ;   in Loop: Header=BB19_17 Depth=3
	s_or_b32 exec_lo, exec_lo, s35
	v_mov_b32_e32 v7, v21
	s_and_b32 vcc_lo, exec_lo, s33
	s_cbranch_vccz .LBB19_37
.LBB19_36:                              ;   in Loop: Header=BB19_17 Depth=3
	v_dual_mov_b32 v7, v22 :: v_dual_add_nc_u32 v6, s29, v8
	s_and_not1_b32 s34, s34, exec_lo
	s_delay_alu instid0(VALU_DEP_1) | instskip(SKIP_1) | instid1(SALU_CYCLE_1)
	v_cmp_gt_i32_e32 vcc_lo, s13, v6
	s_and_b32 s33, s1, vcc_lo
	s_and_b32 s35, s33, exec_lo
	s_mov_b32 s33, 0
	s_or_b32 s34, s34, s35
.LBB19_37:                              ;   in Loop: Header=BB19_17 Depth=3
	v_mov_b32_e32 v23, s33
	s_and_saveexec_b32 s33, s34
	s_cbranch_execz .LBB19_16
; %bb.38:                               ;   in Loop: Header=BB19_17 Depth=3
	v_ashrrev_i32_e32 v23, 31, v7
	v_add_co_u32 v7, vcc_lo, s26, v7
	v_ashrrev_i32_e32 v24, 31, v6
	s_delay_alu instid0(VALU_DEP_3) | instskip(NEXT) | instid1(VALU_DEP_3)
	v_add_co_ci_u32_e32 v23, vcc_lo, s27, v23, vcc_lo
	v_add_co_u32 v6, vcc_lo, v7, v6
	s_delay_alu instid0(VALU_DEP_2)
	v_add_co_ci_u32_e32 v7, vcc_lo, v23, v24, vcc_lo
	global_load_i8 v6, v[6:7], off
	s_waitcnt vmcnt(0)
	v_cvt_f32_i32_e32 v23, v6
	s_branch .LBB19_16
.LBB19_39:                              ;   in Loop: Header=BB19_17 Depth=3
	global_load_i8 v6, v[6:7], off
	s_waitcnt vmcnt(0)
	v_cvt_f32_i32_e32 v23, v6
	s_or_b32 exec_lo, exec_lo, s34
	s_delay_alu instid0(SALU_CYCLE_1)
	s_and_b32 vcc_lo, exec_lo, s8
	ds_store_b32 v10, v23
	s_cbranch_vccnz .LBB19_31
.LBB19_40:                              ;   in Loop: Header=BB19_17 Depth=3
	s_mov_b32 s33, -1
	s_mov_b32 s34, 0
                                        ; implicit-def: $vgpr7
                                        ; implicit-def: $vgpr6
	s_cbranch_execnz .LBB19_36
	s_branch .LBB19_37
.LBB19_41:                              ;   in Loop: Header=BB19_12 Depth=1
	v_cmp_gt_i32_e32 vcc_lo, s13, v21
	s_and_b32 s2, s9, vcc_lo
	s_delay_alu instid0(SALU_CYCLE_1)
	s_and_saveexec_b32 s1, s2
	s_cbranch_execz .LBB19_11
; %bb.42:                               ;   in Loop: Header=BB19_12 Depth=1
	v_add_nc_u32_e32 v5, s14, v21
	s_and_b32 vcc_lo, exec_lo, s25
	s_delay_alu instid0(VALU_DEP_1)
	v_ashrrev_i32_e32 v6, 31, v5
	s_cbranch_vccz .LBB19_48
; %bb.43:                               ;   in Loop: Header=BB19_12 Depth=1
	s_and_b32 vcc_lo, exec_lo, s17
	s_mov_b32 s2, -1
	s_cbranch_vccz .LBB19_45
; %bb.44:                               ;   in Loop: Header=BB19_12 Depth=1
	v_mul_lo_u32 v7, v6, s18
	v_mul_lo_u32 v23, v5, s19
	v_mad_u64_u32 v[21:22], null, v5, s18, 0
	s_mov_b32 s2, 0
	s_delay_alu instid0(VALU_DEP_1) | instskip(SKIP_1) | instid1(VALU_DEP_2)
	v_add3_u32 v22, v22, v23, v7
	v_mul_f32_e32 v23, s12, v20
	v_lshlrev_b64 v[21:22], 2, v[21:22]
	s_delay_alu instid0(VALU_DEP_1) | instskip(NEXT) | instid1(VALU_DEP_2)
	v_add_co_u32 v21, vcc_lo, v11, v21
	v_add_co_ci_u32_e32 v22, vcc_lo, v12, v22, vcc_lo
	global_load_b32 v7, v[21:22], off
	s_waitcnt vmcnt(0)
	v_fmac_f32_e32 v23, s28, v7
	global_store_b32 v[21:22], v23, off
.LBB19_45:                              ;   in Loop: Header=BB19_12 Depth=1
	s_and_not1_b32 vcc_lo, exec_lo, s2
	s_cbranch_vccnz .LBB19_47
; %bb.46:                               ;   in Loop: Header=BB19_12 Depth=1
	v_lshlrev_b64 v[21:22], 2, v[5:6]
	v_mul_f32_e32 v23, s12, v20
	s_delay_alu instid0(VALU_DEP_2) | instskip(NEXT) | instid1(VALU_DEP_3)
	v_add_co_u32 v21, vcc_lo, v14, v21
	v_add_co_ci_u32_e32 v22, vcc_lo, v15, v22, vcc_lo
	global_load_b32 v7, v[21:22], off
	s_waitcnt vmcnt(0)
	v_fmac_f32_e32 v23, s28, v7
	global_store_b32 v[21:22], v23, off
.LBB19_47:                              ;   in Loop: Header=BB19_12 Depth=1
	s_cbranch_execnz .LBB19_11
	s_branch .LBB19_49
.LBB19_48:                              ;   in Loop: Header=BB19_12 Depth=1
.LBB19_49:                              ;   in Loop: Header=BB19_12 Depth=1
	v_mul_f32_e32 v7, s12, v20
	s_and_b32 vcc_lo, exec_lo, s17
	s_mov_b32 s2, -1
	s_cbranch_vccz .LBB19_51
; %bb.50:                               ;   in Loop: Header=BB19_12 Depth=1
	v_mul_lo_u32 v22, v6, s18
	v_mul_lo_u32 v23, v5, s19
	v_mad_u64_u32 v[20:21], null, v5, s18, 0
	s_mov_b32 s2, 0
	s_delay_alu instid0(VALU_DEP_1) | instskip(NEXT) | instid1(VALU_DEP_1)
	v_add3_u32 v21, v21, v23, v22
	v_lshlrev_b64 v[20:21], 2, v[20:21]
	s_delay_alu instid0(VALU_DEP_1) | instskip(NEXT) | instid1(VALU_DEP_2)
	v_add_co_u32 v20, vcc_lo, v11, v20
	v_add_co_ci_u32_e32 v21, vcc_lo, v12, v21, vcc_lo
	global_store_b32 v[20:21], v7, off
.LBB19_51:                              ;   in Loop: Header=BB19_12 Depth=1
	s_and_not1_b32 vcc_lo, exec_lo, s2
	s_cbranch_vccnz .LBB19_11
; %bb.52:                               ;   in Loop: Header=BB19_12 Depth=1
	v_lshlrev_b64 v[5:6], 2, v[5:6]
	s_delay_alu instid0(VALU_DEP_1) | instskip(NEXT) | instid1(VALU_DEP_2)
	v_add_co_u32 v5, vcc_lo, v14, v5
	v_add_co_ci_u32_e32 v6, vcc_lo, v15, v6, vcc_lo
	global_store_b32 v[5:6], v7, off
	s_branch .LBB19_11
.LBB19_53:
	s_nop 0
	s_sendmsg sendmsg(MSG_DEALLOC_VGPRS)
	s_endpgm
	.section	.rodata,"a",@progbits
	.p2align	6, 0x0
	.amdhsa_kernel _ZN9rocsparseL29bsrmm_general_blockdim_kernelILj32ELj32EliaaffEEvb20rocsparse_direction_T2_S2_llNS_24const_host_device_scalarIT6_EEPKT1_PKS2_PKT3_S2_PKT4_llS5_PT5_ll16rocsparse_order_21rocsparse_index_base_b
		.amdhsa_group_segment_fixed_size 8192
		.amdhsa_private_segment_fixed_size 0
		.amdhsa_kernarg_size 140
		.amdhsa_user_sgpr_count 14
		.amdhsa_user_sgpr_dispatch_ptr 0
		.amdhsa_user_sgpr_queue_ptr 0
		.amdhsa_user_sgpr_kernarg_segment_ptr 1
		.amdhsa_user_sgpr_dispatch_id 0
		.amdhsa_user_sgpr_private_segment_size 0
		.amdhsa_wavefront_size32 1
		.amdhsa_uses_dynamic_stack 0
		.amdhsa_enable_private_segment 0
		.amdhsa_system_sgpr_workgroup_id_x 1
		.amdhsa_system_sgpr_workgroup_id_y 1
		.amdhsa_system_sgpr_workgroup_id_z 0
		.amdhsa_system_sgpr_workgroup_info 0
		.amdhsa_system_vgpr_workitem_id 1
		.amdhsa_next_free_vgpr 35
		.amdhsa_next_free_sgpr 37
		.amdhsa_reserve_vcc 1
		.amdhsa_float_round_mode_32 0
		.amdhsa_float_round_mode_16_64 0
		.amdhsa_float_denorm_mode_32 3
		.amdhsa_float_denorm_mode_16_64 3
		.amdhsa_dx10_clamp 1
		.amdhsa_ieee_mode 1
		.amdhsa_fp16_overflow 0
		.amdhsa_workgroup_processor_mode 1
		.amdhsa_memory_ordered 1
		.amdhsa_forward_progress 0
		.amdhsa_shared_vgpr_count 0
		.amdhsa_exception_fp_ieee_invalid_op 0
		.amdhsa_exception_fp_denorm_src 0
		.amdhsa_exception_fp_ieee_div_zero 0
		.amdhsa_exception_fp_ieee_overflow 0
		.amdhsa_exception_fp_ieee_underflow 0
		.amdhsa_exception_fp_ieee_inexact 0
		.amdhsa_exception_int_div_zero 0
	.end_amdhsa_kernel
	.section	.text._ZN9rocsparseL29bsrmm_general_blockdim_kernelILj32ELj32EliaaffEEvb20rocsparse_direction_T2_S2_llNS_24const_host_device_scalarIT6_EEPKT1_PKS2_PKT3_S2_PKT4_llS5_PT5_ll16rocsparse_order_21rocsparse_index_base_b,"axG",@progbits,_ZN9rocsparseL29bsrmm_general_blockdim_kernelILj32ELj32EliaaffEEvb20rocsparse_direction_T2_S2_llNS_24const_host_device_scalarIT6_EEPKT1_PKS2_PKT3_S2_PKT4_llS5_PT5_ll16rocsparse_order_21rocsparse_index_base_b,comdat
.Lfunc_end19:
	.size	_ZN9rocsparseL29bsrmm_general_blockdim_kernelILj32ELj32EliaaffEEvb20rocsparse_direction_T2_S2_llNS_24const_host_device_scalarIT6_EEPKT1_PKS2_PKT3_S2_PKT4_llS5_PT5_ll16rocsparse_order_21rocsparse_index_base_b, .Lfunc_end19-_ZN9rocsparseL29bsrmm_general_blockdim_kernelILj32ELj32EliaaffEEvb20rocsparse_direction_T2_S2_llNS_24const_host_device_scalarIT6_EEPKT1_PKS2_PKT3_S2_PKT4_llS5_PT5_ll16rocsparse_order_21rocsparse_index_base_b
                                        ; -- End function
	.section	.AMDGPU.csdata,"",@progbits
; Kernel info:
; codeLenInByte = 2124
; NumSgprs: 39
; NumVgprs: 35
; ScratchSize: 0
; MemoryBound: 0
; FloatMode: 240
; IeeeMode: 1
; LDSByteSize: 8192 bytes/workgroup (compile time only)
; SGPRBlocks: 4
; VGPRBlocks: 4
; NumSGPRsForWavesPerEU: 39
; NumVGPRsForWavesPerEU: 35
; Occupancy: 16
; WaveLimiterHint : 0
; COMPUTE_PGM_RSRC2:SCRATCH_EN: 0
; COMPUTE_PGM_RSRC2:USER_SGPR: 14
; COMPUTE_PGM_RSRC2:TRAP_HANDLER: 0
; COMPUTE_PGM_RSRC2:TGID_X_EN: 1
; COMPUTE_PGM_RSRC2:TGID_Y_EN: 1
; COMPUTE_PGM_RSRC2:TGID_Z_EN: 0
; COMPUTE_PGM_RSRC2:TIDIG_COMP_CNT: 1
	.section	.text._ZN9rocsparseL29bsrmm_general_blockdim_kernelILj32ELj32EllaaffEEvb20rocsparse_direction_T2_S2_llNS_24const_host_device_scalarIT6_EEPKT1_PKS2_PKT3_S2_PKT4_llS5_PT5_ll16rocsparse_order_21rocsparse_index_base_b,"axG",@progbits,_ZN9rocsparseL29bsrmm_general_blockdim_kernelILj32ELj32EllaaffEEvb20rocsparse_direction_T2_S2_llNS_24const_host_device_scalarIT6_EEPKT1_PKS2_PKT3_S2_PKT4_llS5_PT5_ll16rocsparse_order_21rocsparse_index_base_b,comdat
	.globl	_ZN9rocsparseL29bsrmm_general_blockdim_kernelILj32ELj32EllaaffEEvb20rocsparse_direction_T2_S2_llNS_24const_host_device_scalarIT6_EEPKT1_PKS2_PKT3_S2_PKT4_llS5_PT5_ll16rocsparse_order_21rocsparse_index_base_b ; -- Begin function _ZN9rocsparseL29bsrmm_general_blockdim_kernelILj32ELj32EllaaffEEvb20rocsparse_direction_T2_S2_llNS_24const_host_device_scalarIT6_EEPKT1_PKS2_PKT3_S2_PKT4_llS5_PT5_ll16rocsparse_order_21rocsparse_index_base_b
	.p2align	8
	.type	_ZN9rocsparseL29bsrmm_general_blockdim_kernelILj32ELj32EllaaffEEvb20rocsparse_direction_T2_S2_llNS_24const_host_device_scalarIT6_EEPKT1_PKS2_PKT3_S2_PKT4_llS5_PT5_ll16rocsparse_order_21rocsparse_index_base_b,@function
_ZN9rocsparseL29bsrmm_general_blockdim_kernelILj32ELj32EllaaffEEvb20rocsparse_direction_T2_S2_llNS_24const_host_device_scalarIT6_EEPKT1_PKS2_PKT3_S2_PKT4_llS5_PT5_ll16rocsparse_order_21rocsparse_index_base_b: ; @_ZN9rocsparseL29bsrmm_general_blockdim_kernelILj32ELj32EllaaffEEvb20rocsparse_direction_T2_S2_llNS_24const_host_device_scalarIT6_EEPKT1_PKS2_PKT3_S2_PKT4_llS5_PT5_ll16rocsparse_order_21rocsparse_index_base_b
; %bb.0:
	s_clause 0x2
	s_load_b128 s[20:23], s[0:1], 0x88
	s_load_b64 s[12:13], s[0:1], 0x28
	s_load_b64 s[28:29], s[0:1], 0x68
	s_mov_b32 s2, s15
	s_waitcnt lgkmcnt(0)
	s_bitcmp1_b32 s22, 0
	s_cselect_b32 s3, -1, 0
	s_delay_alu instid0(SALU_CYCLE_1)
	s_and_b32 vcc_lo, exec_lo, s3
	s_xor_b32 s3, s3, -1
	s_cbranch_vccnz .LBB20_2
; %bb.1:
	s_load_b32 s12, s[12:13], 0x0
.LBB20_2:
	s_and_not1_b32 vcc_lo, exec_lo, s3
	s_cbranch_vccnz .LBB20_4
; %bb.3:
	s_load_b32 s28, s[28:29], 0x0
.LBB20_4:
	s_waitcnt lgkmcnt(0)
	v_cmp_eq_f32_e64 s3, s12, 0
	v_cmp_eq_f32_e64 s4, s28, 1.0
	s_delay_alu instid0(VALU_DEP_1) | instskip(NEXT) | instid1(SALU_CYCLE_1)
	s_and_b32 s3, s3, s4
	s_and_b32 vcc_lo, exec_lo, s3
	s_cbranch_vccnz .LBB20_57
; %bb.5:
	s_clause 0x1
	s_load_b128 s[24:27], s[0:1], 0x8
	s_load_b64 s[4:5], s[0:1], 0x30
	s_ashr_i32 s15, s14, 31
	s_mov_b64 s[22:23], 0
	s_waitcnt lgkmcnt(0)
	v_cmp_ge_i64_e64 s6, s[14:15], s[24:25]
	v_cmp_lt_i64_e64 s3, s[14:15], s[24:25]
	s_mov_b64 s[24:25], 0
	s_delay_alu instid0(VALU_DEP_2)
	s_and_b32 vcc_lo, exec_lo, s6
	s_cbranch_vccz .LBB20_8
; %bb.6:
	s_delay_alu instid0(VALU_DEP_1)
	s_and_not1_b32 vcc_lo, exec_lo, s3
	s_cbranch_vccz .LBB20_9
.LBB20_7:
	s_load_b64 s[30:31], s[0:1], 0x48
	s_waitcnt lgkmcnt(0)
	v_cmp_lt_i64_e64 s4, s[30:31], 1
	s_delay_alu instid0(VALU_DEP_1)
	s_and_b32 vcc_lo, exec_lo, s4
	s_cbranch_vccz .LBB20_10
	s_branch .LBB20_57
.LBB20_8:
	s_lshl_b64 s[6:7], s[14:15], 3
	s_delay_alu instid0(SALU_CYCLE_1)
	s_add_u32 s6, s4, s6
	s_addc_u32 s7, s5, s7
	s_load_b64 s[6:7], s[6:7], 0x0
	s_waitcnt lgkmcnt(0)
	s_sub_u32 s24, s6, s21
	s_subb_u32 s25, s7, 0
	s_and_not1_b32 vcc_lo, exec_lo, s3
	s_cbranch_vccnz .LBB20_7
.LBB20_9:
	s_lshl_b64 s[6:7], s[14:15], 3
	s_delay_alu instid0(SALU_CYCLE_1)
	s_add_u32 s4, s4, s6
	s_addc_u32 s5, s5, s7
	s_load_b64 s[4:5], s[4:5], 0x8
	s_waitcnt lgkmcnt(0)
	s_sub_u32 s22, s4, s21
	s_subb_u32 s23, s5, 0
	s_load_b64 s[30:31], s[0:1], 0x48
	s_waitcnt lgkmcnt(0)
	v_cmp_lt_i64_e64 s4, s[30:31], 1
	s_delay_alu instid0(VALU_DEP_1)
	s_and_b32 vcc_lo, exec_lo, s4
	s_cbranch_vccnz .LBB20_57
.LBB20_10:
	s_clause 0x1
	s_load_b64 s[36:37], s[0:1], 0x0
	s_load_b128 s[4:7], s[0:1], 0x70
	v_bfe_u32 v1, v0, 10, 10
	s_clause 0x1
	s_load_b128 s[8:11], s[0:1], 0x38
	s_load_b128 s[16:19], s[0:1], 0x50
	v_dual_mov_b32 v8, 0 :: v_dual_and_b32 v3, 0x3ff, v0
	s_mul_i32 s0, s14, s31
	v_lshl_add_u32 v7, s2, 5, v1
	v_lshlrev_b32_e32 v2, 5, v1
	s_mul_hi_u32 s1, s14, s30
	s_mul_i32 s13, s14, s30
	s_mul_i32 s2, s30, s31
	v_lshlrev_b64 v[5:6], 2, v[7:8]
	v_add_lshl_u32 v22, v2, v3, 2
	v_mov_b32_e32 v4, v8
	s_mul_hi_u32 s14, s30, s30
	v_lshlrev_b32_e32 v24, 2, v3
	v_lshl_add_u32 v25, v1, 7, 0x1000
	v_add_nc_u32_e32 v23, 0x1000, v22
	v_mad_u64_u32 v[13:14], null, s24, s30, v[3:4]
	s_waitcnt lgkmcnt(0)
	v_mad_u64_u32 v[9:10], null, v7, s6, 0
	s_bitcmp1_b32 s36, 0
	v_add_co_u32 v0, vcc_lo, s4, v5
	s_cselect_b32 s15, -1, 0
	s_add_i32 s29, s1, s0
	s_add_i32 s0, s14, s2
	s_delay_alu instid0(VALU_DEP_2) | instskip(SKIP_3) | instid1(VALU_DEP_2)
	v_mov_b32_e32 v2, v10
	s_add_i32 s34, s0, s2
	v_add_co_u32 v5, s0, s16, v7
	s_mul_i32 s1, s25, s30
	v_mad_u64_u32 v[10:11], null, v7, s7, v[2:3]
	v_mad_u64_u32 v[11:12], null, v7, s18, v[3:4]
	s_mul_i32 s2, s24, s31
	v_mov_b32_e32 v2, v8
	v_add_co_ci_u32_e32 v21, vcc_lo, s5, v6, vcc_lo
	v_add_co_ci_u32_e64 v6, null, s17, 0, s0
	s_delay_alu instid0(VALU_DEP_4)
	v_mov_b32_e32 v4, v12
	v_add3_u32 v12, s2, s1, v14
	v_cmp_gt_i64_e64 s0, s[26:27], v[7:8]
	v_lshlrev_b64 v[8:9], 2, v[9:10]
	v_mul_lo_u32 v10, s31, v13
	v_mad_u64_u32 v[14:15], null, v7, s19, v[4:5]
	v_mul_lo_u32 v7, s30, v12
	v_mad_u64_u32 v[15:16], null, s30, v13, v[1:2]
	v_add_co_u32 v2, vcc_lo, s4, v8
	v_add_co_ci_u32_e32 v4, vcc_lo, s5, v9, vcc_lo
	v_mov_b32_e32 v8, v14
	s_xor_b32 s33, s15, -1
	s_delay_alu instid0(VALU_DEP_4)
	v_add3_u32 v9, v10, v16, v7
	v_add_co_u32 v26, vcc_lo, s16, v11
	s_cmp_lg_u32 s37, 0
	v_add_co_ci_u32_e32 v27, vcc_lo, s17, v8, vcc_lo
	s_cselect_b32 s26, -1, 0
	s_and_b32 s27, s3, s0
	v_add_co_u32 v7, vcc_lo, s10, v15
	s_cmp_lg_u32 s20, 1
	v_cmp_lt_i64_e64 s20, s[24:25], s[22:23]
	v_cmp_neq_f32_e64 s36, s28, 0
	v_add_co_ci_u32_e32 v8, vcc_lo, s11, v9, vcc_lo
	s_mul_i32 s35, s30, s30
	s_cselect_b32 s37, -1, 0
	s_lshl_b64 s[2:3], s[30:31], 5
	s_mov_b64 s[4:5], 0
	s_branch .LBB20_12
.LBB20_11:                              ;   in Loop: Header=BB20_12 Depth=1
	s_or_b32 exec_lo, exec_lo, s1
	s_add_u32 s4, s4, 32
	s_addc_u32 s5, s5, 0
	v_add_co_u32 v7, vcc_lo, v7, s2
	v_cmp_lt_i64_e64 s1, s[4:5], s[30:31]
	v_add_co_ci_u32_e32 v8, vcc_lo, s3, v8, vcc_lo
	s_delay_alu instid0(VALU_DEP_2)
	s_and_b32 vcc_lo, exec_lo, s1
	s_cbranch_vccz .LBB20_57
.LBB20_12:                              ; =>This Loop Header: Depth=1
                                        ;     Child Loop BB20_15 Depth 2
                                        ;       Child Loop BB20_17 Depth 3
	v_add_co_u32 v9, s1, s4, v3
	s_delay_alu instid0(VALU_DEP_1) | instskip(SKIP_2) | instid1(VALU_DEP_2)
	v_add_co_ci_u32_e64 v10, null, s5, 0, s1
	v_mov_b32_e32 v28, 0
	s_and_not1_b32 vcc_lo, exec_lo, s20
	v_cmp_gt_i64_e64 s1, s[30:31], v[9:10]
	s_cbranch_vccnz .LBB20_45
; %bb.13:                               ;   in Loop: Header=BB20_12 Depth=1
	v_add_co_u32 v11, vcc_lo, s10, v9
	v_mov_b32_e32 v14, v8
	v_add_co_ci_u32_e32 v12, vcc_lo, s11, v10, vcc_lo
	v_dual_mov_b32 v28, 0 :: v_dual_mov_b32 v13, v7
	s_mov_b64 s[14:15], s[24:25]
	s_branch .LBB20_15
.LBB20_14:                              ;   in Loop: Header=BB20_15 Depth=2
	s_add_u32 s14, s14, 1
	s_addc_u32 s15, s15, 0
	v_add_co_u32 v13, vcc_lo, v13, s35
	v_cmp_ge_i64_e64 s16, s[14:15], s[22:23]
	v_add_co_ci_u32_e32 v14, vcc_lo, s34, v14, vcc_lo
	s_delay_alu instid0(VALU_DEP_2)
	s_and_b32 vcc_lo, exec_lo, s16
	s_cbranch_vccnz .LBB20_45
.LBB20_15:                              ;   Parent Loop BB20_12 Depth=1
                                        ; =>  This Loop Header: Depth=2
                                        ;       Child Loop BB20_17 Depth 3
	s_lshl_b64 s[16:17], s[14:15], 3
	v_mad_u64_u32 v[15:16], null, s35, s14, v[11:12]
	s_add_u32 s16, s8, s16
	s_addc_u32 s17, s9, s17
	s_mul_i32 s38, s34, s14
	s_load_b64 s[16:17], s[16:17], 0x0
	s_mul_i32 s39, s35, s15
	s_delay_alu instid0(VALU_DEP_1) | instid1(SALU_CYCLE_1)
	v_add3_u32 v16, s39, s38, v16
	s_waitcnt lgkmcnt(0)
	s_sub_u32 s16, s16, s21
	s_subb_u32 s17, s17, 0
	s_mul_i32 s38, s16, s31
	s_mul_hi_u32 s39, s16, s30
	s_mul_i32 s17, s17, s30
	s_add_i32 s39, s39, s38
	s_mul_i32 s38, s16, s30
	s_add_i32 s39, s39, s17
	v_add_co_u32 v29, vcc_lo, v26, s38
	v_add_co_ci_u32_e32 v30, vcc_lo, s39, v27, vcc_lo
	s_mov_b64 s[16:17], 0
	s_branch .LBB20_17
.LBB20_16:                              ;   in Loop: Header=BB20_17 Depth=3
	s_or_b32 exec_lo, exec_lo, s41
	ds_store_b32 v22, v19
	s_waitcnt lgkmcnt(0)
	s_waitcnt_vscnt null, 0x0
	s_barrier
	buffer_gl0_inv
	ds_load_2addr_b32 v[35:36], v24 offset1:32
	ds_load_b128 v[17:20], v25
	ds_load_2addr_b32 v[37:38], v24 offset0:64 offset1:96
	ds_load_b128 v[31:34], v25 offset:16
	ds_load_2addr_b32 v[39:40], v24 offset0:128 offset1:160
	s_add_u32 s16, s16, 32
	s_addc_u32 s17, s17, 0
	v_add_nc_u32_e32 v41, 0x400, v24
	v_cmp_ge_i64_e64 s40, s[16:17], s[30:31]
	s_delay_alu instid0(VALU_DEP_1) | instskip(SKIP_2) | instid1(VALU_DEP_1)
	s_and_b32 vcc_lo, exec_lo, s40
	s_waitcnt lgkmcnt(3)
	v_fmac_f32_e32 v28, v35, v17
	v_fmac_f32_e32 v28, v36, v18
	ds_load_2addr_b32 v[35:36], v24 offset0:192 offset1:224
	s_waitcnt lgkmcnt(3)
	v_fmac_f32_e32 v28, v37, v19
	s_delay_alu instid0(VALU_DEP_1) | instskip(SKIP_4) | instid1(VALU_DEP_1)
	v_fmac_f32_e32 v28, v38, v20
	ds_load_2addr_b32 v[37:38], v41 offset1:32
	ds_load_b128 v[17:20], v25 offset:32
	s_waitcnt lgkmcnt(3)
	v_fmac_f32_e32 v28, v39, v31
	v_fmac_f32_e32 v28, v40, v32
	ds_load_2addr_b32 v[39:40], v41 offset0:64 offset1:96
	s_waitcnt lgkmcnt(3)
	v_fmac_f32_e32 v28, v35, v33
	s_delay_alu instid0(VALU_DEP_1) | instskip(SKIP_4) | instid1(VALU_DEP_1)
	v_fmac_f32_e32 v28, v36, v34
	ds_load_b128 v[31:34], v25 offset:48
	ds_load_2addr_b32 v[35:36], v41 offset0:128 offset1:160
	s_waitcnt lgkmcnt(3)
	v_fmac_f32_e32 v28, v37, v17
	v_fmac_f32_e32 v28, v38, v18
	ds_load_2addr_b32 v[37:38], v41 offset0:192 offset1:224
	s_waitcnt lgkmcnt(3)
	v_dual_fmac_f32 v28, v39, v19 :: v_dual_add_nc_u32 v41, 0x800, v24
	s_delay_alu instid0(VALU_DEP_1) | instskip(SKIP_4) | instid1(VALU_DEP_1)
	v_fmac_f32_e32 v28, v40, v20
	ds_load_2addr_b32 v[39:40], v41 offset1:32
	ds_load_b128 v[17:20], v25 offset:64
	s_waitcnt lgkmcnt(3)
	v_fmac_f32_e32 v28, v35, v31
	v_fmac_f32_e32 v28, v36, v32
	ds_load_2addr_b32 v[35:36], v41 offset0:64 offset1:96
	s_waitcnt lgkmcnt(3)
	v_fmac_f32_e32 v28, v37, v33
	s_delay_alu instid0(VALU_DEP_1) | instskip(SKIP_4) | instid1(VALU_DEP_1)
	v_fmac_f32_e32 v28, v38, v34
	ds_load_b128 v[31:34], v25 offset:80
	ds_load_2addr_b32 v[37:38], v41 offset0:128 offset1:160
	s_waitcnt lgkmcnt(3)
	v_fmac_f32_e32 v28, v39, v17
	v_fmac_f32_e32 v28, v40, v18
	ds_load_2addr_b32 v[39:40], v41 offset0:192 offset1:224
	s_waitcnt lgkmcnt(3)
	v_dual_fmac_f32 v28, v35, v19 :: v_dual_add_nc_u32 v41, 0xc00, v24
	s_delay_alu instid0(VALU_DEP_1) | instskip(SKIP_4) | instid1(VALU_DEP_1)
	v_fmac_f32_e32 v28, v36, v20
	ds_load_2addr_b32 v[35:36], v41 offset1:32
	ds_load_b128 v[17:20], v25 offset:96
	s_waitcnt lgkmcnt(3)
	v_fmac_f32_e32 v28, v37, v31
	v_fmac_f32_e32 v28, v38, v32
	ds_load_2addr_b32 v[37:38], v41 offset0:64 offset1:96
	s_waitcnt lgkmcnt(3)
	v_fmac_f32_e32 v28, v39, v33
	s_delay_alu instid0(VALU_DEP_1) | instskip(SKIP_4) | instid1(VALU_DEP_1)
	v_fmac_f32_e32 v28, v40, v34
	ds_load_b128 v[31:34], v25 offset:112
	ds_load_2addr_b32 v[39:40], v41 offset0:128 offset1:160
	s_waitcnt lgkmcnt(3)
	v_fmac_f32_e32 v28, v35, v17
	v_fmac_f32_e32 v28, v36, v18
	ds_load_2addr_b32 v[17:18], v41 offset0:192 offset1:224
	s_waitcnt lgkmcnt(0)
	s_barrier
	buffer_gl0_inv
	v_fmac_f32_e32 v28, v37, v19
	s_delay_alu instid0(VALU_DEP_1) | instskip(NEXT) | instid1(VALU_DEP_1)
	v_fmac_f32_e32 v28, v38, v20
	v_fmac_f32_e32 v28, v39, v31
	s_delay_alu instid0(VALU_DEP_1) | instskip(NEXT) | instid1(VALU_DEP_1)
	v_fmac_f32_e32 v28, v40, v32
	v_fmac_f32_e32 v28, v17, v33
	s_delay_alu instid0(VALU_DEP_1)
	v_fmac_f32_e32 v28, v18, v34
	s_cbranch_vccnz .LBB20_14
.LBB20_17:                              ;   Parent Loop BB20_12 Depth=1
                                        ;     Parent Loop BB20_15 Depth=2
                                        ; =>    This Inner Loop Header: Depth=3
	s_and_b32 vcc_lo, exec_lo, s33
	s_cbranch_vccz .LBB20_23
; %bb.18:                               ;   in Loop: Header=BB20_17 Depth=3
	s_mov_b32 s41, 0
	s_mov_b32 s40, 0
                                        ; implicit-def: $vgpr17_vgpr18
	s_and_saveexec_b32 s42, s0
	s_cbranch_execz .LBB20_22
; %bb.19:                               ;   in Loop: Header=BB20_17 Depth=3
	v_add_co_u32 v19, s40, s16, v3
	s_delay_alu instid0(VALU_DEP_1) | instskip(SKIP_2) | instid1(VALU_DEP_1)
	v_add_co_ci_u32_e64 v20, null, s17, 0, s40
	s_mov_b32 s40, 0
	s_mov_b32 s43, exec_lo
                                        ; implicit-def: $vgpr17_vgpr18
	v_cmpx_gt_i64_e64 s[30:31], v[19:20]
	s_xor_b32 s43, exec_lo, s43
; %bb.20:                               ;   in Loop: Header=BB20_17 Depth=3
	v_add_co_u32 v19, vcc_lo, v19, s38
	v_add_co_ci_u32_e32 v17, vcc_lo, s39, v20, vcc_lo
	s_mov_b32 s40, exec_lo
	s_delay_alu instid0(VALU_DEP_2) | instskip(NEXT) | instid1(VALU_DEP_2)
	v_mul_lo_u32 v20, v19, s19
	v_mul_lo_u32 v31, v17, s18
	v_mad_u64_u32 v[17:18], null, v19, s18, v[5:6]
	s_delay_alu instid0(VALU_DEP_1)
	v_add3_u32 v18, v31, v18, v20
; %bb.21:                               ;   in Loop: Header=BB20_17 Depth=3
	s_or_b32 exec_lo, exec_lo, s43
	s_delay_alu instid0(SALU_CYCLE_1)
	s_and_b32 s40, s40, exec_lo
.LBB20_22:                              ;   in Loop: Header=BB20_17 Depth=3
	s_or_b32 exec_lo, exec_lo, s42
	s_delay_alu instid0(SALU_CYCLE_1)
	s_and_b32 vcc_lo, exec_lo, s41
	s_cbranch_vccnz .LBB20_24
	s_branch .LBB20_29
.LBB20_23:                              ;   in Loop: Header=BB20_17 Depth=3
	s_mov_b32 s41, -1
	s_mov_b32 s40, 0
                                        ; implicit-def: $vgpr17_vgpr18
	s_cbranch_execz .LBB20_29
.LBB20_24:                              ;   in Loop: Header=BB20_17 Depth=3
                                        ; implicit-def: $vgpr17_vgpr18
	s_and_saveexec_b32 s41, s0
	s_cbranch_execz .LBB20_28
; %bb.25:                               ;   in Loop: Header=BB20_17 Depth=3
	v_add_co_u32 v17, s42, v3, s16
	s_delay_alu instid0(VALU_DEP_1) | instskip(SKIP_1) | instid1(VALU_DEP_1)
	v_add_co_ci_u32_e64 v18, null, 0, s17, s42
	s_mov_b32 s42, s40
	v_cmp_gt_i64_e32 vcc_lo, s[30:31], v[17:18]
                                        ; implicit-def: $vgpr17_vgpr18
	s_and_saveexec_b32 s43, vcc_lo
; %bb.26:                               ;   in Loop: Header=BB20_17 Depth=3
	v_add_co_u32 v17, vcc_lo, v29, s16
	v_add_co_ci_u32_e32 v18, vcc_lo, s17, v30, vcc_lo
	s_or_b32 s42, s40, exec_lo
; %bb.27:                               ;   in Loop: Header=BB20_17 Depth=3
	s_or_b32 exec_lo, exec_lo, s43
	s_delay_alu instid0(SALU_CYCLE_1) | instskip(SKIP_1) | instid1(SALU_CYCLE_1)
	s_and_not1_b32 s40, s40, exec_lo
	s_and_b32 s42, s42, exec_lo
	s_or_b32 s40, s40, s42
.LBB20_28:                              ;   in Loop: Header=BB20_17 Depth=3
	s_or_b32 exec_lo, exec_lo, s41
	s_mov_b32 s41, 0
.LBB20_29:                              ;   in Loop: Header=BB20_17 Depth=3
	s_delay_alu instid0(SALU_CYCLE_1)
	v_mov_b32_e32 v19, s41
	s_and_saveexec_b32 s41, s40
	s_cbranch_execnz .LBB20_37
; %bb.30:                               ;   in Loop: Header=BB20_17 Depth=3
	s_or_b32 exec_lo, exec_lo, s41
	s_delay_alu instid0(SALU_CYCLE_1)
	s_and_b32 vcc_lo, exec_lo, s26
	ds_store_b32 v23, v19
	s_cbranch_vccz .LBB20_38
.LBB20_31:                              ;   in Loop: Header=BB20_17 Depth=3
	s_mov_b32 s41, 0
	s_mov_b32 s40, 0
                                        ; implicit-def: $vgpr17_vgpr18
	s_and_saveexec_b32 s42, s1
	s_cbranch_execz .LBB20_35
; %bb.32:                               ;   in Loop: Header=BB20_17 Depth=3
	v_add_co_u32 v19, s40, s16, v1
	s_delay_alu instid0(VALU_DEP_1) | instskip(SKIP_2) | instid1(VALU_DEP_1)
	v_add_co_ci_u32_e64 v20, null, s17, 0, s40
	s_mov_b32 s40, 0
	s_mov_b32 s43, exec_lo
                                        ; implicit-def: $vgpr17_vgpr18
	v_cmpx_gt_i64_e64 s[30:31], v[19:20]
	s_xor_b32 s43, exec_lo, s43
; %bb.33:                               ;   in Loop: Header=BB20_17 Depth=3
	v_mad_u64_u32 v[17:18], null, v19, s30, v[15:16]
	v_mul_lo_u32 v19, v19, s31
	v_mul_lo_u32 v20, v20, s30
	s_mov_b32 s40, exec_lo
	s_delay_alu instid0(VALU_DEP_1)
	v_add3_u32 v18, v20, v18, v19
; %bb.34:                               ;   in Loop: Header=BB20_17 Depth=3
	s_or_b32 exec_lo, exec_lo, s43
	s_delay_alu instid0(SALU_CYCLE_1)
	s_and_b32 s40, s40, exec_lo
.LBB20_35:                              ;   in Loop: Header=BB20_17 Depth=3
	s_or_b32 exec_lo, exec_lo, s42
	s_delay_alu instid0(SALU_CYCLE_1)
	s_and_b32 vcc_lo, exec_lo, s41
	s_cbranch_vccnz .LBB20_39
.LBB20_36:                              ;   in Loop: Header=BB20_17 Depth=3
	v_mov_b32_e32 v19, s41
	s_and_saveexec_b32 s41, s40
	s_cbranch_execz .LBB20_16
	s_branch .LBB20_44
.LBB20_37:                              ;   in Loop: Header=BB20_17 Depth=3
	global_load_i8 v17, v[17:18], off
	s_waitcnt vmcnt(0)
	v_cvt_f32_i32_e32 v19, v17
	s_or_b32 exec_lo, exec_lo, s41
	s_delay_alu instid0(SALU_CYCLE_1)
	s_and_b32 vcc_lo, exec_lo, s26
	ds_store_b32 v23, v19
	s_cbranch_vccnz .LBB20_31
.LBB20_38:                              ;   in Loop: Header=BB20_17 Depth=3
	s_mov_b32 s41, -1
	s_mov_b32 s40, 0
                                        ; implicit-def: $vgpr17_vgpr18
	s_cbranch_execz .LBB20_36
.LBB20_39:                              ;   in Loop: Header=BB20_17 Depth=3
                                        ; implicit-def: $vgpr17_vgpr18
	s_and_saveexec_b32 s41, s1
	s_cbranch_execz .LBB20_43
; %bb.40:                               ;   in Loop: Header=BB20_17 Depth=3
	v_add_co_u32 v17, s42, v1, s16
	s_delay_alu instid0(VALU_DEP_1) | instskip(SKIP_1) | instid1(VALU_DEP_1)
	v_add_co_ci_u32_e64 v18, null, 0, s17, s42
	s_mov_b32 s42, s40
	v_cmp_gt_i64_e32 vcc_lo, s[30:31], v[17:18]
                                        ; implicit-def: $vgpr17_vgpr18
	s_and_saveexec_b32 s43, vcc_lo
; %bb.41:                               ;   in Loop: Header=BB20_17 Depth=3
	v_add_co_u32 v17, vcc_lo, v13, s16
	v_add_co_ci_u32_e32 v18, vcc_lo, s17, v14, vcc_lo
	s_or_b32 s42, s40, exec_lo
; %bb.42:                               ;   in Loop: Header=BB20_17 Depth=3
	s_or_b32 exec_lo, exec_lo, s43
	s_delay_alu instid0(SALU_CYCLE_1) | instskip(SKIP_1) | instid1(SALU_CYCLE_1)
	s_and_not1_b32 s40, s40, exec_lo
	s_and_b32 s42, s42, exec_lo
	s_or_b32 s40, s40, s42
.LBB20_43:                              ;   in Loop: Header=BB20_17 Depth=3
	s_or_b32 exec_lo, exec_lo, s41
	s_mov_b32 s41, 0
	s_delay_alu instid0(SALU_CYCLE_1)
	v_mov_b32_e32 v19, s41
	s_and_saveexec_b32 s41, s40
	s_cbranch_execz .LBB20_16
.LBB20_44:                              ;   in Loop: Header=BB20_17 Depth=3
	global_load_i8 v17, v[17:18], off
	s_waitcnt vmcnt(0)
	v_cvt_f32_i32_e32 v19, v17
	s_branch .LBB20_16
.LBB20_45:                              ;   in Loop: Header=BB20_12 Depth=1
	v_cmp_gt_i64_e32 vcc_lo, s[30:31], v[9:10]
	s_and_b32 s14, s27, vcc_lo
	s_delay_alu instid0(SALU_CYCLE_1)
	s_and_saveexec_b32 s1, s14
	s_cbranch_execz .LBB20_11
; %bb.46:                               ;   in Loop: Header=BB20_12 Depth=1
	v_add_co_u32 v9, vcc_lo, v9, s13
	v_add_co_ci_u32_e32 v10, vcc_lo, s29, v10, vcc_lo
	s_and_b32 vcc_lo, exec_lo, s36
	s_cbranch_vccz .LBB20_52
; %bb.47:                               ;   in Loop: Header=BB20_12 Depth=1
	s_and_b32 vcc_lo, exec_lo, s37
	s_mov_b32 s14, -1
	s_cbranch_vccz .LBB20_49
; %bb.48:                               ;   in Loop: Header=BB20_12 Depth=1
	v_mul_lo_u32 v13, v10, s6
	v_mul_lo_u32 v14, v9, s7
	v_mad_u64_u32 v[11:12], null, v9, s6, 0
	s_mov_b32 s14, 0
	s_delay_alu instid0(VALU_DEP_1) | instskip(SKIP_1) | instid1(VALU_DEP_2)
	v_add3_u32 v12, v12, v14, v13
	v_mul_f32_e32 v14, s12, v28
	v_lshlrev_b64 v[11:12], 2, v[11:12]
	s_delay_alu instid0(VALU_DEP_1) | instskip(NEXT) | instid1(VALU_DEP_2)
	v_add_co_u32 v11, vcc_lo, v0, v11
	v_add_co_ci_u32_e32 v12, vcc_lo, v21, v12, vcc_lo
	global_load_b32 v13, v[11:12], off
	s_waitcnt vmcnt(0)
	v_fmac_f32_e32 v14, s28, v13
	global_store_b32 v[11:12], v14, off
.LBB20_49:                              ;   in Loop: Header=BB20_12 Depth=1
	s_and_not1_b32 vcc_lo, exec_lo, s14
	s_cbranch_vccnz .LBB20_51
; %bb.50:                               ;   in Loop: Header=BB20_12 Depth=1
	v_lshlrev_b64 v[11:12], 2, v[9:10]
	v_mul_f32_e32 v14, s12, v28
	s_delay_alu instid0(VALU_DEP_2) | instskip(NEXT) | instid1(VALU_DEP_3)
	v_add_co_u32 v11, vcc_lo, v2, v11
	v_add_co_ci_u32_e32 v12, vcc_lo, v4, v12, vcc_lo
	global_load_b32 v13, v[11:12], off
	s_waitcnt vmcnt(0)
	v_fmac_f32_e32 v14, s28, v13
	global_store_b32 v[11:12], v14, off
.LBB20_51:                              ;   in Loop: Header=BB20_12 Depth=1
	s_cbranch_execnz .LBB20_11
	s_branch .LBB20_53
.LBB20_52:                              ;   in Loop: Header=BB20_12 Depth=1
.LBB20_53:                              ;   in Loop: Header=BB20_12 Depth=1
	v_mul_f32_e32 v11, s12, v28
	s_and_b32 vcc_lo, exec_lo, s37
	s_mov_b32 s14, -1
	s_cbranch_vccz .LBB20_55
; %bb.54:                               ;   in Loop: Header=BB20_12 Depth=1
	v_mul_lo_u32 v14, v10, s6
	v_mul_lo_u32 v15, v9, s7
	v_mad_u64_u32 v[12:13], null, v9, s6, 0
	s_mov_b32 s14, 0
	s_delay_alu instid0(VALU_DEP_1) | instskip(NEXT) | instid1(VALU_DEP_1)
	v_add3_u32 v13, v13, v15, v14
	v_lshlrev_b64 v[12:13], 2, v[12:13]
	s_delay_alu instid0(VALU_DEP_1) | instskip(NEXT) | instid1(VALU_DEP_2)
	v_add_co_u32 v12, vcc_lo, v0, v12
	v_add_co_ci_u32_e32 v13, vcc_lo, v21, v13, vcc_lo
	global_store_b32 v[12:13], v11, off
.LBB20_55:                              ;   in Loop: Header=BB20_12 Depth=1
	s_and_not1_b32 vcc_lo, exec_lo, s14
	s_cbranch_vccnz .LBB20_11
; %bb.56:                               ;   in Loop: Header=BB20_12 Depth=1
	v_lshlrev_b64 v[9:10], 2, v[9:10]
	s_delay_alu instid0(VALU_DEP_1) | instskip(NEXT) | instid1(VALU_DEP_2)
	v_add_co_u32 v9, vcc_lo, v2, v9
	v_add_co_ci_u32_e32 v10, vcc_lo, v4, v10, vcc_lo
	global_store_b32 v[9:10], v11, off
	s_branch .LBB20_11
.LBB20_57:
	s_nop 0
	s_sendmsg sendmsg(MSG_DEALLOC_VGPRS)
	s_endpgm
	.section	.rodata,"a",@progbits
	.p2align	6, 0x0
	.amdhsa_kernel _ZN9rocsparseL29bsrmm_general_blockdim_kernelILj32ELj32EllaaffEEvb20rocsparse_direction_T2_S2_llNS_24const_host_device_scalarIT6_EEPKT1_PKS2_PKT3_S2_PKT4_llS5_PT5_ll16rocsparse_order_21rocsparse_index_base_b
		.amdhsa_group_segment_fixed_size 8192
		.amdhsa_private_segment_fixed_size 0
		.amdhsa_kernarg_size 148
		.amdhsa_user_sgpr_count 14
		.amdhsa_user_sgpr_dispatch_ptr 0
		.amdhsa_user_sgpr_queue_ptr 0
		.amdhsa_user_sgpr_kernarg_segment_ptr 1
		.amdhsa_user_sgpr_dispatch_id 0
		.amdhsa_user_sgpr_private_segment_size 0
		.amdhsa_wavefront_size32 1
		.amdhsa_uses_dynamic_stack 0
		.amdhsa_enable_private_segment 0
		.amdhsa_system_sgpr_workgroup_id_x 1
		.amdhsa_system_sgpr_workgroup_id_y 1
		.amdhsa_system_sgpr_workgroup_id_z 0
		.amdhsa_system_sgpr_workgroup_info 0
		.amdhsa_system_vgpr_workitem_id 1
		.amdhsa_next_free_vgpr 42
		.amdhsa_next_free_sgpr 44
		.amdhsa_reserve_vcc 1
		.amdhsa_float_round_mode_32 0
		.amdhsa_float_round_mode_16_64 0
		.amdhsa_float_denorm_mode_32 3
		.amdhsa_float_denorm_mode_16_64 3
		.amdhsa_dx10_clamp 1
		.amdhsa_ieee_mode 1
		.amdhsa_fp16_overflow 0
		.amdhsa_workgroup_processor_mode 1
		.amdhsa_memory_ordered 1
		.amdhsa_forward_progress 0
		.amdhsa_shared_vgpr_count 0
		.amdhsa_exception_fp_ieee_invalid_op 0
		.amdhsa_exception_fp_denorm_src 0
		.amdhsa_exception_fp_ieee_div_zero 0
		.amdhsa_exception_fp_ieee_overflow 0
		.amdhsa_exception_fp_ieee_underflow 0
		.amdhsa_exception_fp_ieee_inexact 0
		.amdhsa_exception_int_div_zero 0
	.end_amdhsa_kernel
	.section	.text._ZN9rocsparseL29bsrmm_general_blockdim_kernelILj32ELj32EllaaffEEvb20rocsparse_direction_T2_S2_llNS_24const_host_device_scalarIT6_EEPKT1_PKS2_PKT3_S2_PKT4_llS5_PT5_ll16rocsparse_order_21rocsparse_index_base_b,"axG",@progbits,_ZN9rocsparseL29bsrmm_general_blockdim_kernelILj32ELj32EllaaffEEvb20rocsparse_direction_T2_S2_llNS_24const_host_device_scalarIT6_EEPKT1_PKS2_PKT3_S2_PKT4_llS5_PT5_ll16rocsparse_order_21rocsparse_index_base_b,comdat
.Lfunc_end20:
	.size	_ZN9rocsparseL29bsrmm_general_blockdim_kernelILj32ELj32EllaaffEEvb20rocsparse_direction_T2_S2_llNS_24const_host_device_scalarIT6_EEPKT1_PKS2_PKT3_S2_PKT4_llS5_PT5_ll16rocsparse_order_21rocsparse_index_base_b, .Lfunc_end20-_ZN9rocsparseL29bsrmm_general_blockdim_kernelILj32ELj32EllaaffEEvb20rocsparse_direction_T2_S2_llNS_24const_host_device_scalarIT6_EEPKT1_PKS2_PKT3_S2_PKT4_llS5_PT5_ll16rocsparse_order_21rocsparse_index_base_b
                                        ; -- End function
	.section	.AMDGPU.csdata,"",@progbits
; Kernel info:
; codeLenInByte = 2480
; NumSgprs: 46
; NumVgprs: 42
; ScratchSize: 0
; MemoryBound: 0
; FloatMode: 240
; IeeeMode: 1
; LDSByteSize: 8192 bytes/workgroup (compile time only)
; SGPRBlocks: 5
; VGPRBlocks: 5
; NumSGPRsForWavesPerEU: 46
; NumVGPRsForWavesPerEU: 42
; Occupancy: 16
; WaveLimiterHint : 1
; COMPUTE_PGM_RSRC2:SCRATCH_EN: 0
; COMPUTE_PGM_RSRC2:USER_SGPR: 14
; COMPUTE_PGM_RSRC2:TRAP_HANDLER: 0
; COMPUTE_PGM_RSRC2:TGID_X_EN: 1
; COMPUTE_PGM_RSRC2:TGID_Y_EN: 1
; COMPUTE_PGM_RSRC2:TGID_Z_EN: 0
; COMPUTE_PGM_RSRC2:TIDIG_COMP_CNT: 1
	.text
	.p2alignl 7, 3214868480
	.fill 96, 4, 3214868480
	.type	__hip_cuid_15ab4419d414244c,@object ; @__hip_cuid_15ab4419d414244c
	.section	.bss,"aw",@nobits
	.globl	__hip_cuid_15ab4419d414244c
__hip_cuid_15ab4419d414244c:
	.byte	0                               ; 0x0
	.size	__hip_cuid_15ab4419d414244c, 1

	.ident	"AMD clang version 19.0.0git (https://github.com/RadeonOpenCompute/llvm-project roc-6.4.0 25133 c7fe45cf4b819c5991fe208aaa96edf142730f1d)"
	.section	".note.GNU-stack","",@progbits
	.addrsig
	.addrsig_sym __hip_cuid_15ab4419d414244c
	.amdgpu_metadata
---
amdhsa.kernels:
  - .args:
      - .offset:         0
        .size:           1
        .value_kind:     by_value
      - .offset:         4
        .size:           4
        .value_kind:     by_value
      - .offset:         8
        .size:           4
        .value_kind:     by_value
      - .offset:         12
        .size:           4
        .value_kind:     by_value
      - .offset:         16
        .size:           8
        .value_kind:     by_value
      - .offset:         24
        .size:           8
        .value_kind:     by_value
      - .offset:         32
        .size:           8
        .value_kind:     by_value
      - .actual_access:  read_only
        .address_space:  global
        .offset:         40
        .size:           8
        .value_kind:     global_buffer
      - .actual_access:  read_only
        .address_space:  global
        .offset:         48
        .size:           8
        .value_kind:     global_buffer
      - .actual_access:  read_only
        .address_space:  global
        .offset:         56
        .size:           8
        .value_kind:     global_buffer
      - .offset:         64
        .size:           4
        .value_kind:     by_value
      - .actual_access:  read_only
        .address_space:  global
        .offset:         72
        .size:           8
        .value_kind:     global_buffer
      - .offset:         80
        .size:           8
        .value_kind:     by_value
      - .offset:         88
        .size:           8
        .value_kind:     by_value
      - .offset:         96
        .size:           8
        .value_kind:     by_value
      - .address_space:  global
        .offset:         104
        .size:           8
        .value_kind:     global_buffer
      - .offset:         112
        .size:           8
        .value_kind:     by_value
      - .offset:         120
        .size:           8
        .value_kind:     by_value
      - .offset:         128
        .size:           4
        .value_kind:     by_value
      - .offset:         132
        .size:           4
        .value_kind:     by_value
      - .offset:         136
        .size:           1
        .value_kind:     by_value
    .group_segment_fixed_size: 8192
    .kernarg_segment_align: 8
    .kernarg_segment_size: 140
    .language:       OpenCL C
    .language_version:
      - 2
      - 0
    .max_flat_workgroup_size: 1024
    .name:           _ZN9rocsparseL29bsrmm_general_blockdim_kernelILj32ELj32EiiffffEEvb20rocsparse_direction_T2_S2_llNS_24const_host_device_scalarIT6_EEPKT1_PKS2_PKT3_S2_PKT4_llS5_PT5_ll16rocsparse_order_21rocsparse_index_base_b
    .private_segment_fixed_size: 0
    .sgpr_count:     36
    .sgpr_spill_count: 0
    .symbol:         _ZN9rocsparseL29bsrmm_general_blockdim_kernelILj32ELj32EiiffffEEvb20rocsparse_direction_T2_S2_llNS_24const_host_device_scalarIT6_EEPKT1_PKS2_PKT3_S2_PKT4_llS5_PT5_ll16rocsparse_order_21rocsparse_index_base_b.kd
    .uniform_work_group_size: 1
    .uses_dynamic_stack: false
    .vgpr_count:     36
    .vgpr_spill_count: 0
    .wavefront_size: 32
    .workgroup_processor_mode: 1
  - .args:
      - .offset:         0
        .size:           1
        .value_kind:     by_value
      - .offset:         4
        .size:           4
        .value_kind:     by_value
      - .offset:         8
        .size:           4
        .value_kind:     by_value
      - .offset:         12
        .size:           4
        .value_kind:     by_value
      - .offset:         16
        .size:           8
        .value_kind:     by_value
      - .offset:         24
        .size:           8
        .value_kind:     by_value
      - .offset:         32
        .size:           8
        .value_kind:     by_value
      - .actual_access:  read_only
        .address_space:  global
        .offset:         40
        .size:           8
        .value_kind:     global_buffer
      - .actual_access:  read_only
        .address_space:  global
        .offset:         48
        .size:           8
        .value_kind:     global_buffer
      - .actual_access:  read_only
        .address_space:  global
        .offset:         56
        .size:           8
        .value_kind:     global_buffer
      - .offset:         64
        .size:           4
        .value_kind:     by_value
      - .actual_access:  read_only
        .address_space:  global
        .offset:         72
        .size:           8
        .value_kind:     global_buffer
      - .offset:         80
        .size:           8
        .value_kind:     by_value
      - .offset:         88
        .size:           8
        .value_kind:     by_value
      - .offset:         96
        .size:           8
        .value_kind:     by_value
      - .address_space:  global
        .offset:         104
        .size:           8
        .value_kind:     global_buffer
      - .offset:         112
        .size:           8
        .value_kind:     by_value
      - .offset:         120
        .size:           8
        .value_kind:     by_value
      - .offset:         128
        .size:           4
        .value_kind:     by_value
      - .offset:         132
        .size:           4
        .value_kind:     by_value
      - .offset:         136
        .size:           1
        .value_kind:     by_value
    .group_segment_fixed_size: 8192
    .kernarg_segment_align: 8
    .kernarg_segment_size: 140
    .language:       OpenCL C
    .language_version:
      - 2
      - 0
    .max_flat_workgroup_size: 1024
    .name:           _ZN9rocsparseL29bsrmm_general_blockdim_kernelILj32ELj32EliffffEEvb20rocsparse_direction_T2_S2_llNS_24const_host_device_scalarIT6_EEPKT1_PKS2_PKT3_S2_PKT4_llS5_PT5_ll16rocsparse_order_21rocsparse_index_base_b
    .private_segment_fixed_size: 0
    .sgpr_count:     39
    .sgpr_spill_count: 0
    .symbol:         _ZN9rocsparseL29bsrmm_general_blockdim_kernelILj32ELj32EliffffEEvb20rocsparse_direction_T2_S2_llNS_24const_host_device_scalarIT6_EEPKT1_PKS2_PKT3_S2_PKT4_llS5_PT5_ll16rocsparse_order_21rocsparse_index_base_b.kd
    .uniform_work_group_size: 1
    .uses_dynamic_stack: false
    .vgpr_count:     35
    .vgpr_spill_count: 0
    .wavefront_size: 32
    .workgroup_processor_mode: 1
  - .args:
      - .offset:         0
        .size:           1
        .value_kind:     by_value
      - .offset:         4
        .size:           4
        .value_kind:     by_value
      - .offset:         8
        .size:           8
        .value_kind:     by_value
      - .offset:         16
        .size:           8
        .value_kind:     by_value
      - .offset:         24
        .size:           8
        .value_kind:     by_value
      - .offset:         32
        .size:           8
        .value_kind:     by_value
      - .offset:         40
        .size:           8
        .value_kind:     by_value
      - .actual_access:  read_only
        .address_space:  global
        .offset:         48
        .size:           8
        .value_kind:     global_buffer
      - .actual_access:  read_only
        .address_space:  global
        .offset:         56
        .size:           8
        .value_kind:     global_buffer
      - .actual_access:  read_only
        .address_space:  global
        .offset:         64
        .size:           8
        .value_kind:     global_buffer
      - .offset:         72
        .size:           8
        .value_kind:     by_value
      - .actual_access:  read_only
        .address_space:  global
        .offset:         80
        .size:           8
        .value_kind:     global_buffer
      - .offset:         88
        .size:           8
        .value_kind:     by_value
      - .offset:         96
        .size:           8
        .value_kind:     by_value
      - .offset:         104
        .size:           8
        .value_kind:     by_value
      - .address_space:  global
        .offset:         112
        .size:           8
        .value_kind:     global_buffer
      - .offset:         120
        .size:           8
        .value_kind:     by_value
      - .offset:         128
        .size:           8
        .value_kind:     by_value
      - .offset:         136
        .size:           4
        .value_kind:     by_value
      - .offset:         140
        .size:           4
        .value_kind:     by_value
      - .offset:         144
        .size:           1
        .value_kind:     by_value
    .group_segment_fixed_size: 8192
    .kernarg_segment_align: 8
    .kernarg_segment_size: 148
    .language:       OpenCL C
    .language_version:
      - 2
      - 0
    .max_flat_workgroup_size: 1024
    .name:           _ZN9rocsparseL29bsrmm_general_blockdim_kernelILj32ELj32EllffffEEvb20rocsparse_direction_T2_S2_llNS_24const_host_device_scalarIT6_EEPKT1_PKS2_PKT3_S2_PKT4_llS5_PT5_ll16rocsparse_order_21rocsparse_index_base_b
    .private_segment_fixed_size: 0
    .sgpr_count:     50
    .sgpr_spill_count: 0
    .symbol:         _ZN9rocsparseL29bsrmm_general_blockdim_kernelILj32ELj32EllffffEEvb20rocsparse_direction_T2_S2_llNS_24const_host_device_scalarIT6_EEPKT1_PKS2_PKT3_S2_PKT4_llS5_PT5_ll16rocsparse_order_21rocsparse_index_base_b.kd
    .uniform_work_group_size: 1
    .uses_dynamic_stack: false
    .vgpr_count:     44
    .vgpr_spill_count: 0
    .wavefront_size: 32
    .workgroup_processor_mode: 1
  - .args:
      - .offset:         0
        .size:           1
        .value_kind:     by_value
      - .offset:         4
        .size:           4
        .value_kind:     by_value
      - .offset:         8
        .size:           4
        .value_kind:     by_value
      - .offset:         12
        .size:           4
        .value_kind:     by_value
      - .offset:         16
        .size:           8
        .value_kind:     by_value
      - .offset:         24
        .size:           8
        .value_kind:     by_value
      - .offset:         32
        .size:           8
        .value_kind:     by_value
      - .actual_access:  read_only
        .address_space:  global
        .offset:         40
        .size:           8
        .value_kind:     global_buffer
      - .actual_access:  read_only
        .address_space:  global
        .offset:         48
        .size:           8
        .value_kind:     global_buffer
      - .actual_access:  read_only
        .address_space:  global
        .offset:         56
        .size:           8
        .value_kind:     global_buffer
      - .offset:         64
        .size:           4
        .value_kind:     by_value
      - .actual_access:  read_only
        .address_space:  global
        .offset:         72
        .size:           8
        .value_kind:     global_buffer
      - .offset:         80
        .size:           8
        .value_kind:     by_value
      - .offset:         88
        .size:           8
        .value_kind:     by_value
      - .offset:         96
        .size:           8
        .value_kind:     by_value
      - .address_space:  global
        .offset:         104
        .size:           8
        .value_kind:     global_buffer
      - .offset:         112
        .size:           8
        .value_kind:     by_value
      - .offset:         120
        .size:           8
        .value_kind:     by_value
      - .offset:         128
        .size:           4
        .value_kind:     by_value
      - .offset:         132
        .size:           4
        .value_kind:     by_value
      - .offset:         136
        .size:           1
        .value_kind:     by_value
    .group_segment_fixed_size: 16384
    .kernarg_segment_align: 8
    .kernarg_segment_size: 140
    .language:       OpenCL C
    .language_version:
      - 2
      - 0
    .max_flat_workgroup_size: 1024
    .name:           _ZN9rocsparseL29bsrmm_general_blockdim_kernelILj32ELj32EiiddddEEvb20rocsparse_direction_T2_S2_llNS_24const_host_device_scalarIT6_EEPKT1_PKS2_PKT3_S2_PKT4_llS5_PT5_ll16rocsparse_order_21rocsparse_index_base_b
    .private_segment_fixed_size: 0
    .sgpr_count:     33
    .sgpr_spill_count: 0
    .symbol:         _ZN9rocsparseL29bsrmm_general_blockdim_kernelILj32ELj32EiiddddEEvb20rocsparse_direction_T2_S2_llNS_24const_host_device_scalarIT6_EEPKT1_PKS2_PKT3_S2_PKT4_llS5_PT5_ll16rocsparse_order_21rocsparse_index_base_b.kd
    .uniform_work_group_size: 1
    .uses_dynamic_stack: false
    .vgpr_count:     37
    .vgpr_spill_count: 0
    .wavefront_size: 32
    .workgroup_processor_mode: 1
  - .args:
      - .offset:         0
        .size:           1
        .value_kind:     by_value
      - .offset:         4
        .size:           4
        .value_kind:     by_value
      - .offset:         8
        .size:           4
        .value_kind:     by_value
      - .offset:         12
        .size:           4
        .value_kind:     by_value
      - .offset:         16
        .size:           8
        .value_kind:     by_value
      - .offset:         24
        .size:           8
        .value_kind:     by_value
      - .offset:         32
        .size:           8
        .value_kind:     by_value
      - .actual_access:  read_only
        .address_space:  global
        .offset:         40
        .size:           8
        .value_kind:     global_buffer
      - .actual_access:  read_only
        .address_space:  global
        .offset:         48
        .size:           8
        .value_kind:     global_buffer
      - .actual_access:  read_only
        .address_space:  global
        .offset:         56
        .size:           8
        .value_kind:     global_buffer
      - .offset:         64
        .size:           4
        .value_kind:     by_value
      - .actual_access:  read_only
        .address_space:  global
        .offset:         72
        .size:           8
        .value_kind:     global_buffer
      - .offset:         80
        .size:           8
        .value_kind:     by_value
      - .offset:         88
        .size:           8
        .value_kind:     by_value
      - .offset:         96
        .size:           8
        .value_kind:     by_value
      - .address_space:  global
        .offset:         104
        .size:           8
        .value_kind:     global_buffer
      - .offset:         112
        .size:           8
        .value_kind:     by_value
      - .offset:         120
        .size:           8
        .value_kind:     by_value
      - .offset:         128
        .size:           4
        .value_kind:     by_value
      - .offset:         132
        .size:           4
        .value_kind:     by_value
      - .offset:         136
        .size:           1
        .value_kind:     by_value
    .group_segment_fixed_size: 16384
    .kernarg_segment_align: 8
    .kernarg_segment_size: 140
    .language:       OpenCL C
    .language_version:
      - 2
      - 0
    .max_flat_workgroup_size: 1024
    .name:           _ZN9rocsparseL29bsrmm_general_blockdim_kernelILj32ELj32EliddddEEvb20rocsparse_direction_T2_S2_llNS_24const_host_device_scalarIT6_EEPKT1_PKS2_PKT3_S2_PKT4_llS5_PT5_ll16rocsparse_order_21rocsparse_index_base_b
    .private_segment_fixed_size: 0
    .sgpr_count:     37
    .sgpr_spill_count: 0
    .symbol:         _ZN9rocsparseL29bsrmm_general_blockdim_kernelILj32ELj32EliddddEEvb20rocsparse_direction_T2_S2_llNS_24const_host_device_scalarIT6_EEPKT1_PKS2_PKT3_S2_PKT4_llS5_PT5_ll16rocsparse_order_21rocsparse_index_base_b.kd
    .uniform_work_group_size: 1
    .uses_dynamic_stack: false
    .vgpr_count:     37
    .vgpr_spill_count: 0
    .wavefront_size: 32
    .workgroup_processor_mode: 1
  - .args:
      - .offset:         0
        .size:           1
        .value_kind:     by_value
      - .offset:         4
        .size:           4
        .value_kind:     by_value
      - .offset:         8
        .size:           8
        .value_kind:     by_value
      - .offset:         16
        .size:           8
        .value_kind:     by_value
      - .offset:         24
        .size:           8
        .value_kind:     by_value
      - .offset:         32
        .size:           8
        .value_kind:     by_value
      - .offset:         40
        .size:           8
        .value_kind:     by_value
      - .actual_access:  read_only
        .address_space:  global
        .offset:         48
        .size:           8
        .value_kind:     global_buffer
      - .actual_access:  read_only
        .address_space:  global
        .offset:         56
        .size:           8
        .value_kind:     global_buffer
      - .actual_access:  read_only
        .address_space:  global
        .offset:         64
        .size:           8
        .value_kind:     global_buffer
      - .offset:         72
        .size:           8
        .value_kind:     by_value
      - .actual_access:  read_only
        .address_space:  global
        .offset:         80
        .size:           8
        .value_kind:     global_buffer
      - .offset:         88
        .size:           8
        .value_kind:     by_value
      - .offset:         96
        .size:           8
        .value_kind:     by_value
      - .offset:         104
        .size:           8
        .value_kind:     by_value
      - .address_space:  global
        .offset:         112
        .size:           8
        .value_kind:     global_buffer
      - .offset:         120
        .size:           8
        .value_kind:     by_value
      - .offset:         128
        .size:           8
        .value_kind:     by_value
      - .offset:         136
        .size:           4
        .value_kind:     by_value
      - .offset:         140
        .size:           4
        .value_kind:     by_value
      - .offset:         144
        .size:           1
        .value_kind:     by_value
    .group_segment_fixed_size: 16384
    .kernarg_segment_align: 8
    .kernarg_segment_size: 148
    .language:       OpenCL C
    .language_version:
      - 2
      - 0
    .max_flat_workgroup_size: 1024
    .name:           _ZN9rocsparseL29bsrmm_general_blockdim_kernelILj32ELj32EllddddEEvb20rocsparse_direction_T2_S2_llNS_24const_host_device_scalarIT6_EEPKT1_PKS2_PKT3_S2_PKT4_llS5_PT5_ll16rocsparse_order_21rocsparse_index_base_b
    .private_segment_fixed_size: 0
    .sgpr_count:     48
    .sgpr_spill_count: 0
    .symbol:         _ZN9rocsparseL29bsrmm_general_blockdim_kernelILj32ELj32EllddddEEvb20rocsparse_direction_T2_S2_llNS_24const_host_device_scalarIT6_EEPKT1_PKS2_PKT3_S2_PKT4_llS5_PT5_ll16rocsparse_order_21rocsparse_index_base_b.kd
    .uniform_work_group_size: 1
    .uses_dynamic_stack: false
    .vgpr_count:     47
    .vgpr_spill_count: 0
    .wavefront_size: 32
    .workgroup_processor_mode: 1
  - .args:
      - .offset:         0
        .size:           1
        .value_kind:     by_value
      - .offset:         4
        .size:           4
        .value_kind:     by_value
      - .offset:         8
        .size:           4
        .value_kind:     by_value
      - .offset:         12
        .size:           4
        .value_kind:     by_value
      - .offset:         16
        .size:           8
        .value_kind:     by_value
      - .offset:         24
        .size:           8
        .value_kind:     by_value
      - .offset:         32
        .size:           8
        .value_kind:     by_value
      - .actual_access:  read_only
        .address_space:  global
        .offset:         40
        .size:           8
        .value_kind:     global_buffer
      - .actual_access:  read_only
        .address_space:  global
        .offset:         48
        .size:           8
        .value_kind:     global_buffer
      - .actual_access:  read_only
        .address_space:  global
        .offset:         56
        .size:           8
        .value_kind:     global_buffer
      - .offset:         64
        .size:           4
        .value_kind:     by_value
      - .actual_access:  read_only
        .address_space:  global
        .offset:         72
        .size:           8
        .value_kind:     global_buffer
      - .offset:         80
        .size:           8
        .value_kind:     by_value
      - .offset:         88
        .size:           8
        .value_kind:     by_value
      - .offset:         96
        .size:           8
        .value_kind:     by_value
      - .address_space:  global
        .offset:         104
        .size:           8
        .value_kind:     global_buffer
      - .offset:         112
        .size:           8
        .value_kind:     by_value
      - .offset:         120
        .size:           8
        .value_kind:     by_value
      - .offset:         128
        .size:           4
        .value_kind:     by_value
      - .offset:         132
        .size:           4
        .value_kind:     by_value
      - .offset:         136
        .size:           1
        .value_kind:     by_value
    .group_segment_fixed_size: 16384
    .kernarg_segment_align: 8
    .kernarg_segment_size: 140
    .language:       OpenCL C
    .language_version:
      - 2
      - 0
    .max_flat_workgroup_size: 1024
    .name:           _ZN9rocsparseL29bsrmm_general_blockdim_kernelILj32ELj32Eii21rocsparse_complex_numIfES2_S2_S2_EEvb20rocsparse_direction_T2_S4_llNS_24const_host_device_scalarIT6_EEPKT1_PKS4_PKT3_S4_PKT4_llS7_PT5_ll16rocsparse_order_21rocsparse_index_base_b
    .private_segment_fixed_size: 0
    .sgpr_count:     32
    .sgpr_spill_count: 0
    .symbol:         _ZN9rocsparseL29bsrmm_general_blockdim_kernelILj32ELj32Eii21rocsparse_complex_numIfES2_S2_S2_EEvb20rocsparse_direction_T2_S4_llNS_24const_host_device_scalarIT6_EEPKT1_PKS4_PKT3_S4_PKT4_llS7_PT5_ll16rocsparse_order_21rocsparse_index_base_b.kd
    .uniform_work_group_size: 1
    .uses_dynamic_stack: false
    .vgpr_count:     42
    .vgpr_spill_count: 0
    .wavefront_size: 32
    .workgroup_processor_mode: 1
  - .args:
      - .offset:         0
        .size:           1
        .value_kind:     by_value
      - .offset:         4
        .size:           4
        .value_kind:     by_value
      - .offset:         8
        .size:           4
        .value_kind:     by_value
      - .offset:         12
        .size:           4
        .value_kind:     by_value
      - .offset:         16
        .size:           8
        .value_kind:     by_value
      - .offset:         24
        .size:           8
        .value_kind:     by_value
      - .offset:         32
        .size:           8
        .value_kind:     by_value
      - .actual_access:  read_only
        .address_space:  global
        .offset:         40
        .size:           8
        .value_kind:     global_buffer
      - .actual_access:  read_only
        .address_space:  global
        .offset:         48
        .size:           8
        .value_kind:     global_buffer
      - .actual_access:  read_only
        .address_space:  global
        .offset:         56
        .size:           8
        .value_kind:     global_buffer
      - .offset:         64
        .size:           4
        .value_kind:     by_value
      - .actual_access:  read_only
        .address_space:  global
        .offset:         72
        .size:           8
        .value_kind:     global_buffer
      - .offset:         80
        .size:           8
        .value_kind:     by_value
      - .offset:         88
        .size:           8
        .value_kind:     by_value
      - .offset:         96
        .size:           8
        .value_kind:     by_value
      - .address_space:  global
        .offset:         104
        .size:           8
        .value_kind:     global_buffer
      - .offset:         112
        .size:           8
        .value_kind:     by_value
      - .offset:         120
        .size:           8
        .value_kind:     by_value
      - .offset:         128
        .size:           4
        .value_kind:     by_value
      - .offset:         132
        .size:           4
        .value_kind:     by_value
      - .offset:         136
        .size:           1
        .value_kind:     by_value
    .group_segment_fixed_size: 16384
    .kernarg_segment_align: 8
    .kernarg_segment_size: 140
    .language:       OpenCL C
    .language_version:
      - 2
      - 0
    .max_flat_workgroup_size: 1024
    .name:           _ZN9rocsparseL29bsrmm_general_blockdim_kernelILj32ELj32Eli21rocsparse_complex_numIfES2_S2_S2_EEvb20rocsparse_direction_T2_S4_llNS_24const_host_device_scalarIT6_EEPKT1_PKS4_PKT3_S4_PKT4_llS7_PT5_ll16rocsparse_order_21rocsparse_index_base_b
    .private_segment_fixed_size: 0
    .sgpr_count:     38
    .sgpr_spill_count: 0
    .symbol:         _ZN9rocsparseL29bsrmm_general_blockdim_kernelILj32ELj32Eli21rocsparse_complex_numIfES2_S2_S2_EEvb20rocsparse_direction_T2_S4_llNS_24const_host_device_scalarIT6_EEPKT1_PKS4_PKT3_S4_PKT4_llS7_PT5_ll16rocsparse_order_21rocsparse_index_base_b.kd
    .uniform_work_group_size: 1
    .uses_dynamic_stack: false
    .vgpr_count:     39
    .vgpr_spill_count: 0
    .wavefront_size: 32
    .workgroup_processor_mode: 1
  - .args:
      - .offset:         0
        .size:           1
        .value_kind:     by_value
      - .offset:         4
        .size:           4
        .value_kind:     by_value
      - .offset:         8
        .size:           8
        .value_kind:     by_value
      - .offset:         16
        .size:           8
        .value_kind:     by_value
      - .offset:         24
        .size:           8
        .value_kind:     by_value
      - .offset:         32
        .size:           8
        .value_kind:     by_value
      - .offset:         40
        .size:           8
        .value_kind:     by_value
      - .actual_access:  read_only
        .address_space:  global
        .offset:         48
        .size:           8
        .value_kind:     global_buffer
      - .actual_access:  read_only
        .address_space:  global
        .offset:         56
        .size:           8
        .value_kind:     global_buffer
      - .actual_access:  read_only
        .address_space:  global
        .offset:         64
        .size:           8
        .value_kind:     global_buffer
      - .offset:         72
        .size:           8
        .value_kind:     by_value
      - .actual_access:  read_only
        .address_space:  global
        .offset:         80
        .size:           8
        .value_kind:     global_buffer
      - .offset:         88
        .size:           8
        .value_kind:     by_value
      - .offset:         96
        .size:           8
        .value_kind:     by_value
      - .offset:         104
        .size:           8
        .value_kind:     by_value
      - .address_space:  global
        .offset:         112
        .size:           8
        .value_kind:     global_buffer
      - .offset:         120
        .size:           8
        .value_kind:     by_value
      - .offset:         128
        .size:           8
        .value_kind:     by_value
      - .offset:         136
        .size:           4
        .value_kind:     by_value
      - .offset:         140
        .size:           4
        .value_kind:     by_value
      - .offset:         144
        .size:           1
        .value_kind:     by_value
    .group_segment_fixed_size: 16384
    .kernarg_segment_align: 8
    .kernarg_segment_size: 148
    .language:       OpenCL C
    .language_version:
      - 2
      - 0
    .max_flat_workgroup_size: 1024
    .name:           _ZN9rocsparseL29bsrmm_general_blockdim_kernelILj32ELj32Ell21rocsparse_complex_numIfES2_S2_S2_EEvb20rocsparse_direction_T2_S4_llNS_24const_host_device_scalarIT6_EEPKT1_PKS4_PKT3_S4_PKT4_llS7_PT5_ll16rocsparse_order_21rocsparse_index_base_b
    .private_segment_fixed_size: 0
    .sgpr_count:     42
    .sgpr_spill_count: 0
    .symbol:         _ZN9rocsparseL29bsrmm_general_blockdim_kernelILj32ELj32Ell21rocsparse_complex_numIfES2_S2_S2_EEvb20rocsparse_direction_T2_S4_llNS_24const_host_device_scalarIT6_EEPKT1_PKS4_PKT3_S4_PKT4_llS7_PT5_ll16rocsparse_order_21rocsparse_index_base_b.kd
    .uniform_work_group_size: 1
    .uses_dynamic_stack: false
    .vgpr_count:     52
    .vgpr_spill_count: 0
    .wavefront_size: 32
    .workgroup_processor_mode: 1
  - .args:
      - .offset:         0
        .size:           1
        .value_kind:     by_value
      - .offset:         4
        .size:           4
        .value_kind:     by_value
      - .offset:         8
        .size:           4
        .value_kind:     by_value
      - .offset:         12
        .size:           4
        .value_kind:     by_value
      - .offset:         16
        .size:           8
        .value_kind:     by_value
      - .offset:         24
        .size:           8
        .value_kind:     by_value
      - .offset:         32
        .size:           16
        .value_kind:     by_value
      - .actual_access:  read_only
        .address_space:  global
        .offset:         48
        .size:           8
        .value_kind:     global_buffer
      - .actual_access:  read_only
        .address_space:  global
        .offset:         56
        .size:           8
        .value_kind:     global_buffer
      - .actual_access:  read_only
        .address_space:  global
        .offset:         64
        .size:           8
        .value_kind:     global_buffer
      - .offset:         72
        .size:           4
        .value_kind:     by_value
      - .actual_access:  read_only
        .address_space:  global
        .offset:         80
        .size:           8
        .value_kind:     global_buffer
      - .offset:         88
        .size:           8
        .value_kind:     by_value
      - .offset:         96
        .size:           8
        .value_kind:     by_value
      - .offset:         104
        .size:           16
        .value_kind:     by_value
      - .address_space:  global
        .offset:         120
        .size:           8
        .value_kind:     global_buffer
      - .offset:         128
        .size:           8
        .value_kind:     by_value
      - .offset:         136
        .size:           8
        .value_kind:     by_value
      - .offset:         144
        .size:           4
        .value_kind:     by_value
      - .offset:         148
        .size:           4
        .value_kind:     by_value
      - .offset:         152
        .size:           1
        .value_kind:     by_value
    .group_segment_fixed_size: 49152
    .kernarg_segment_align: 8
    .kernarg_segment_size: 156
    .language:       OpenCL C
    .language_version:
      - 2
      - 0
    .max_flat_workgroup_size: 1024
    .name:           _ZN9rocsparseL29bsrmm_general_blockdim_kernelILj32ELj32Eii21rocsparse_complex_numIdES2_S2_S2_EEvb20rocsparse_direction_T2_S4_llNS_24const_host_device_scalarIT6_EEPKT1_PKS4_PKT3_S4_PKT4_llS7_PT5_ll16rocsparse_order_21rocsparse_index_base_b
    .private_segment_fixed_size: 0
    .sgpr_count:     32
    .sgpr_spill_count: 0
    .symbol:         _ZN9rocsparseL29bsrmm_general_blockdim_kernelILj32ELj32Eii21rocsparse_complex_numIdES2_S2_S2_EEvb20rocsparse_direction_T2_S4_llNS_24const_host_device_scalarIT6_EEPKT1_PKS4_PKT3_S4_PKT4_llS7_PT5_ll16rocsparse_order_21rocsparse_index_base_b.kd
    .uniform_work_group_size: 1
    .uses_dynamic_stack: false
    .vgpr_count:     50
    .vgpr_spill_count: 0
    .wavefront_size: 32
    .workgroup_processor_mode: 1
  - .args:
      - .offset:         0
        .size:           1
        .value_kind:     by_value
      - .offset:         4
        .size:           4
        .value_kind:     by_value
      - .offset:         8
        .size:           4
        .value_kind:     by_value
      - .offset:         12
        .size:           4
        .value_kind:     by_value
      - .offset:         16
        .size:           8
        .value_kind:     by_value
      - .offset:         24
        .size:           8
        .value_kind:     by_value
      - .offset:         32
        .size:           16
        .value_kind:     by_value
      - .actual_access:  read_only
        .address_space:  global
        .offset:         48
        .size:           8
        .value_kind:     global_buffer
      - .actual_access:  read_only
        .address_space:  global
        .offset:         56
        .size:           8
        .value_kind:     global_buffer
      - .actual_access:  read_only
        .address_space:  global
        .offset:         64
        .size:           8
        .value_kind:     global_buffer
      - .offset:         72
        .size:           4
        .value_kind:     by_value
      - .actual_access:  read_only
        .address_space:  global
        .offset:         80
        .size:           8
        .value_kind:     global_buffer
      - .offset:         88
        .size:           8
        .value_kind:     by_value
      - .offset:         96
        .size:           8
        .value_kind:     by_value
      - .offset:         104
        .size:           16
        .value_kind:     by_value
      - .address_space:  global
        .offset:         120
        .size:           8
        .value_kind:     global_buffer
      - .offset:         128
        .size:           8
        .value_kind:     by_value
      - .offset:         136
        .size:           8
        .value_kind:     by_value
      - .offset:         144
        .size:           4
        .value_kind:     by_value
      - .offset:         148
        .size:           4
        .value_kind:     by_value
      - .offset:         152
        .size:           1
        .value_kind:     by_value
    .group_segment_fixed_size: 49152
    .kernarg_segment_align: 8
    .kernarg_segment_size: 156
    .language:       OpenCL C
    .language_version:
      - 2
      - 0
    .max_flat_workgroup_size: 1024
    .name:           _ZN9rocsparseL29bsrmm_general_blockdim_kernelILj32ELj32Eli21rocsparse_complex_numIdES2_S2_S2_EEvb20rocsparse_direction_T2_S4_llNS_24const_host_device_scalarIT6_EEPKT1_PKS4_PKT3_S4_PKT4_llS7_PT5_ll16rocsparse_order_21rocsparse_index_base_b
    .private_segment_fixed_size: 0
    .sgpr_count:     38
    .sgpr_spill_count: 0
    .symbol:         _ZN9rocsparseL29bsrmm_general_blockdim_kernelILj32ELj32Eli21rocsparse_complex_numIdES2_S2_S2_EEvb20rocsparse_direction_T2_S4_llNS_24const_host_device_scalarIT6_EEPKT1_PKS4_PKT3_S4_PKT4_llS7_PT5_ll16rocsparse_order_21rocsparse_index_base_b.kd
    .uniform_work_group_size: 1
    .uses_dynamic_stack: false
    .vgpr_count:     48
    .vgpr_spill_count: 0
    .wavefront_size: 32
    .workgroup_processor_mode: 1
  - .args:
      - .offset:         0
        .size:           1
        .value_kind:     by_value
      - .offset:         4
        .size:           4
        .value_kind:     by_value
      - .offset:         8
        .size:           8
        .value_kind:     by_value
      - .offset:         16
        .size:           8
        .value_kind:     by_value
      - .offset:         24
        .size:           8
        .value_kind:     by_value
      - .offset:         32
        .size:           8
        .value_kind:     by_value
      - .offset:         40
        .size:           16
        .value_kind:     by_value
      - .actual_access:  read_only
        .address_space:  global
        .offset:         56
        .size:           8
        .value_kind:     global_buffer
      - .actual_access:  read_only
        .address_space:  global
        .offset:         64
        .size:           8
        .value_kind:     global_buffer
      - .actual_access:  read_only
        .address_space:  global
        .offset:         72
        .size:           8
        .value_kind:     global_buffer
      - .offset:         80
        .size:           8
        .value_kind:     by_value
      - .actual_access:  read_only
        .address_space:  global
        .offset:         88
        .size:           8
        .value_kind:     global_buffer
      - .offset:         96
        .size:           8
        .value_kind:     by_value
      - .offset:         104
        .size:           8
        .value_kind:     by_value
      - .offset:         112
        .size:           16
        .value_kind:     by_value
      - .address_space:  global
        .offset:         128
        .size:           8
        .value_kind:     global_buffer
      - .offset:         136
        .size:           8
        .value_kind:     by_value
      - .offset:         144
        .size:           8
        .value_kind:     by_value
      - .offset:         152
        .size:           4
        .value_kind:     by_value
      - .offset:         156
        .size:           4
        .value_kind:     by_value
      - .offset:         160
        .size:           1
        .value_kind:     by_value
    .group_segment_fixed_size: 49152
    .kernarg_segment_align: 8
    .kernarg_segment_size: 164
    .language:       OpenCL C
    .language_version:
      - 2
      - 0
    .max_flat_workgroup_size: 1024
    .name:           _ZN9rocsparseL29bsrmm_general_blockdim_kernelILj32ELj32Ell21rocsparse_complex_numIdES2_S2_S2_EEvb20rocsparse_direction_T2_S4_llNS_24const_host_device_scalarIT6_EEPKT1_PKS4_PKT3_S4_PKT4_llS7_PT5_ll16rocsparse_order_21rocsparse_index_base_b
    .private_segment_fixed_size: 0
    .sgpr_count:     42
    .sgpr_spill_count: 0
    .symbol:         _ZN9rocsparseL29bsrmm_general_blockdim_kernelILj32ELj32Ell21rocsparse_complex_numIdES2_S2_S2_EEvb20rocsparse_direction_T2_S4_llNS_24const_host_device_scalarIT6_EEPKT1_PKS4_PKT3_S4_PKT4_llS7_PT5_ll16rocsparse_order_21rocsparse_index_base_b.kd
    .uniform_work_group_size: 1
    .uses_dynamic_stack: false
    .vgpr_count:     60
    .vgpr_spill_count: 0
    .wavefront_size: 32
    .workgroup_processor_mode: 1
  - .args:
      - .offset:         0
        .size:           1
        .value_kind:     by_value
      - .offset:         4
        .size:           4
        .value_kind:     by_value
      - .offset:         8
        .size:           4
        .value_kind:     by_value
      - .offset:         12
        .size:           4
        .value_kind:     by_value
      - .offset:         16
        .size:           8
        .value_kind:     by_value
      - .offset:         24
        .size:           8
        .value_kind:     by_value
      - .offset:         32
        .size:           8
        .value_kind:     by_value
      - .actual_access:  read_only
        .address_space:  global
        .offset:         40
        .size:           8
        .value_kind:     global_buffer
      - .actual_access:  read_only
        .address_space:  global
        .offset:         48
        .size:           8
        .value_kind:     global_buffer
      - .actual_access:  read_only
        .address_space:  global
        .offset:         56
        .size:           8
        .value_kind:     global_buffer
      - .offset:         64
        .size:           4
        .value_kind:     by_value
      - .actual_access:  read_only
        .address_space:  global
        .offset:         72
        .size:           8
        .value_kind:     global_buffer
      - .offset:         80
        .size:           8
        .value_kind:     by_value
      - .offset:         88
        .size:           8
        .value_kind:     by_value
      - .offset:         96
        .size:           8
        .value_kind:     by_value
      - .address_space:  global
        .offset:         104
        .size:           8
        .value_kind:     global_buffer
      - .offset:         112
        .size:           8
        .value_kind:     by_value
      - .offset:         120
        .size:           8
        .value_kind:     by_value
      - .offset:         128
        .size:           4
        .value_kind:     by_value
      - .offset:         132
        .size:           4
        .value_kind:     by_value
      - .offset:         136
        .size:           1
        .value_kind:     by_value
    .group_segment_fixed_size: 8192
    .kernarg_segment_align: 8
    .kernarg_segment_size: 140
    .language:       OpenCL C
    .language_version:
      - 2
      - 0
    .max_flat_workgroup_size: 1024
    .name:           _ZN9rocsparseL29bsrmm_general_blockdim_kernelILj32ELj32EiiDF16_DF16_ffEEvb20rocsparse_direction_T2_S2_llNS_24const_host_device_scalarIT6_EEPKT1_PKS2_PKT3_S2_PKT4_llS5_PT5_ll16rocsparse_order_21rocsparse_index_base_b
    .private_segment_fixed_size: 0
    .sgpr_count:     36
    .sgpr_spill_count: 0
    .symbol:         _ZN9rocsparseL29bsrmm_general_blockdim_kernelILj32ELj32EiiDF16_DF16_ffEEvb20rocsparse_direction_T2_S2_llNS_24const_host_device_scalarIT6_EEPKT1_PKS2_PKT3_S2_PKT4_llS5_PT5_ll16rocsparse_order_21rocsparse_index_base_b.kd
    .uniform_work_group_size: 1
    .uses_dynamic_stack: false
    .vgpr_count:     34
    .vgpr_spill_count: 0
    .wavefront_size: 32
    .workgroup_processor_mode: 1
  - .args:
      - .offset:         0
        .size:           1
        .value_kind:     by_value
      - .offset:         4
        .size:           4
        .value_kind:     by_value
      - .offset:         8
        .size:           4
        .value_kind:     by_value
      - .offset:         12
        .size:           4
        .value_kind:     by_value
      - .offset:         16
        .size:           8
        .value_kind:     by_value
      - .offset:         24
        .size:           8
        .value_kind:     by_value
      - .offset:         32
        .size:           8
        .value_kind:     by_value
      - .actual_access:  read_only
        .address_space:  global
        .offset:         40
        .size:           8
        .value_kind:     global_buffer
      - .actual_access:  read_only
        .address_space:  global
        .offset:         48
        .size:           8
        .value_kind:     global_buffer
      - .actual_access:  read_only
        .address_space:  global
        .offset:         56
        .size:           8
        .value_kind:     global_buffer
      - .offset:         64
        .size:           4
        .value_kind:     by_value
      - .actual_access:  read_only
        .address_space:  global
        .offset:         72
        .size:           8
        .value_kind:     global_buffer
      - .offset:         80
        .size:           8
        .value_kind:     by_value
      - .offset:         88
        .size:           8
        .value_kind:     by_value
      - .offset:         96
        .size:           8
        .value_kind:     by_value
      - .address_space:  global
        .offset:         104
        .size:           8
        .value_kind:     global_buffer
      - .offset:         112
        .size:           8
        .value_kind:     by_value
      - .offset:         120
        .size:           8
        .value_kind:     by_value
      - .offset:         128
        .size:           4
        .value_kind:     by_value
      - .offset:         132
        .size:           4
        .value_kind:     by_value
      - .offset:         136
        .size:           1
        .value_kind:     by_value
    .group_segment_fixed_size: 8192
    .kernarg_segment_align: 8
    .kernarg_segment_size: 140
    .language:       OpenCL C
    .language_version:
      - 2
      - 0
    .max_flat_workgroup_size: 1024
    .name:           _ZN9rocsparseL29bsrmm_general_blockdim_kernelILj32ELj32EliDF16_DF16_ffEEvb20rocsparse_direction_T2_S2_llNS_24const_host_device_scalarIT6_EEPKT1_PKS2_PKT3_S2_PKT4_llS5_PT5_ll16rocsparse_order_21rocsparse_index_base_b
    .private_segment_fixed_size: 0
    .sgpr_count:     39
    .sgpr_spill_count: 0
    .symbol:         _ZN9rocsparseL29bsrmm_general_blockdim_kernelILj32ELj32EliDF16_DF16_ffEEvb20rocsparse_direction_T2_S2_llNS_24const_host_device_scalarIT6_EEPKT1_PKS2_PKT3_S2_PKT4_llS5_PT5_ll16rocsparse_order_21rocsparse_index_base_b.kd
    .uniform_work_group_size: 1
    .uses_dynamic_stack: false
    .vgpr_count:     33
    .vgpr_spill_count: 0
    .wavefront_size: 32
    .workgroup_processor_mode: 1
  - .args:
      - .offset:         0
        .size:           1
        .value_kind:     by_value
      - .offset:         4
        .size:           4
        .value_kind:     by_value
      - .offset:         8
        .size:           8
        .value_kind:     by_value
      - .offset:         16
        .size:           8
        .value_kind:     by_value
      - .offset:         24
        .size:           8
        .value_kind:     by_value
      - .offset:         32
        .size:           8
        .value_kind:     by_value
      - .offset:         40
        .size:           8
        .value_kind:     by_value
      - .actual_access:  read_only
        .address_space:  global
        .offset:         48
        .size:           8
        .value_kind:     global_buffer
      - .actual_access:  read_only
        .address_space:  global
        .offset:         56
        .size:           8
        .value_kind:     global_buffer
      - .actual_access:  read_only
        .address_space:  global
        .offset:         64
        .size:           8
        .value_kind:     global_buffer
      - .offset:         72
        .size:           8
        .value_kind:     by_value
      - .actual_access:  read_only
        .address_space:  global
        .offset:         80
        .size:           8
        .value_kind:     global_buffer
      - .offset:         88
        .size:           8
        .value_kind:     by_value
      - .offset:         96
        .size:           8
        .value_kind:     by_value
      - .offset:         104
        .size:           8
        .value_kind:     by_value
      - .address_space:  global
        .offset:         112
        .size:           8
        .value_kind:     global_buffer
      - .offset:         120
        .size:           8
        .value_kind:     by_value
      - .offset:         128
        .size:           8
        .value_kind:     by_value
      - .offset:         136
        .size:           4
        .value_kind:     by_value
      - .offset:         140
        .size:           4
        .value_kind:     by_value
      - .offset:         144
        .size:           1
        .value_kind:     by_value
    .group_segment_fixed_size: 8192
    .kernarg_segment_align: 8
    .kernarg_segment_size: 148
    .language:       OpenCL C
    .language_version:
      - 2
      - 0
    .max_flat_workgroup_size: 1024
    .name:           _ZN9rocsparseL29bsrmm_general_blockdim_kernelILj32ELj32EllDF16_DF16_ffEEvb20rocsparse_direction_T2_S2_llNS_24const_host_device_scalarIT6_EEPKT1_PKS2_PKT3_S2_PKT4_llS5_PT5_ll16rocsparse_order_21rocsparse_index_base_b
    .private_segment_fixed_size: 0
    .sgpr_count:     50
    .sgpr_spill_count: 0
    .symbol:         _ZN9rocsparseL29bsrmm_general_blockdim_kernelILj32ELj32EllDF16_DF16_ffEEvb20rocsparse_direction_T2_S2_llNS_24const_host_device_scalarIT6_EEPKT1_PKS2_PKT3_S2_PKT4_llS5_PT5_ll16rocsparse_order_21rocsparse_index_base_b.kd
    .uniform_work_group_size: 1
    .uses_dynamic_stack: false
    .vgpr_count:     44
    .vgpr_spill_count: 0
    .wavefront_size: 32
    .workgroup_processor_mode: 1
  - .args:
      - .offset:         0
        .size:           1
        .value_kind:     by_value
      - .offset:         4
        .size:           4
        .value_kind:     by_value
      - .offset:         8
        .size:           4
        .value_kind:     by_value
      - .offset:         12
        .size:           4
        .value_kind:     by_value
      - .offset:         16
        .size:           8
        .value_kind:     by_value
      - .offset:         24
        .size:           8
        .value_kind:     by_value
      - .offset:         32
        .size:           8
        .value_kind:     by_value
      - .actual_access:  read_only
        .address_space:  global
        .offset:         40
        .size:           8
        .value_kind:     global_buffer
      - .actual_access:  read_only
        .address_space:  global
        .offset:         48
        .size:           8
        .value_kind:     global_buffer
      - .actual_access:  read_only
        .address_space:  global
        .offset:         56
        .size:           8
        .value_kind:     global_buffer
      - .offset:         64
        .size:           4
        .value_kind:     by_value
      - .actual_access:  read_only
        .address_space:  global
        .offset:         72
        .size:           8
        .value_kind:     global_buffer
      - .offset:         80
        .size:           8
        .value_kind:     by_value
      - .offset:         88
        .size:           8
        .value_kind:     by_value
      - .offset:         96
        .size:           8
        .value_kind:     by_value
      - .address_space:  global
        .offset:         104
        .size:           8
        .value_kind:     global_buffer
      - .offset:         112
        .size:           8
        .value_kind:     by_value
      - .offset:         120
        .size:           8
        .value_kind:     by_value
      - .offset:         128
        .size:           4
        .value_kind:     by_value
      - .offset:         132
        .size:           4
        .value_kind:     by_value
      - .offset:         136
        .size:           1
        .value_kind:     by_value
    .group_segment_fixed_size: 8192
    .kernarg_segment_align: 8
    .kernarg_segment_size: 140
    .language:       OpenCL C
    .language_version:
      - 2
      - 0
    .max_flat_workgroup_size: 1024
    .name:           _ZN9rocsparseL29bsrmm_general_blockdim_kernelILj32ELj32EiiaaiiEEvb20rocsparse_direction_T2_S2_llNS_24const_host_device_scalarIT6_EEPKT1_PKS2_PKT3_S2_PKT4_llS5_PT5_ll16rocsparse_order_21rocsparse_index_base_b
    .private_segment_fixed_size: 0
    .sgpr_count:     36
    .sgpr_spill_count: 0
    .symbol:         _ZN9rocsparseL29bsrmm_general_blockdim_kernelILj32ELj32EiiaaiiEEvb20rocsparse_direction_T2_S2_llNS_24const_host_device_scalarIT6_EEPKT1_PKS2_PKT3_S2_PKT4_llS5_PT5_ll16rocsparse_order_21rocsparse_index_base_b.kd
    .uniform_work_group_size: 1
    .uses_dynamic_stack: false
    .vgpr_count:     74
    .vgpr_spill_count: 0
    .wavefront_size: 32
    .workgroup_processor_mode: 1
  - .args:
      - .offset:         0
        .size:           1
        .value_kind:     by_value
      - .offset:         4
        .size:           4
        .value_kind:     by_value
      - .offset:         8
        .size:           4
        .value_kind:     by_value
      - .offset:         12
        .size:           4
        .value_kind:     by_value
      - .offset:         16
        .size:           8
        .value_kind:     by_value
      - .offset:         24
        .size:           8
        .value_kind:     by_value
      - .offset:         32
        .size:           8
        .value_kind:     by_value
      - .actual_access:  read_only
        .address_space:  global
        .offset:         40
        .size:           8
        .value_kind:     global_buffer
      - .actual_access:  read_only
        .address_space:  global
        .offset:         48
        .size:           8
        .value_kind:     global_buffer
      - .actual_access:  read_only
        .address_space:  global
        .offset:         56
        .size:           8
        .value_kind:     global_buffer
      - .offset:         64
        .size:           4
        .value_kind:     by_value
      - .actual_access:  read_only
        .address_space:  global
        .offset:         72
        .size:           8
        .value_kind:     global_buffer
      - .offset:         80
        .size:           8
        .value_kind:     by_value
      - .offset:         88
        .size:           8
        .value_kind:     by_value
      - .offset:         96
        .size:           8
        .value_kind:     by_value
      - .address_space:  global
        .offset:         104
        .size:           8
        .value_kind:     global_buffer
      - .offset:         112
        .size:           8
        .value_kind:     by_value
      - .offset:         120
        .size:           8
        .value_kind:     by_value
      - .offset:         128
        .size:           4
        .value_kind:     by_value
      - .offset:         132
        .size:           4
        .value_kind:     by_value
      - .offset:         136
        .size:           1
        .value_kind:     by_value
    .group_segment_fixed_size: 8192
    .kernarg_segment_align: 8
    .kernarg_segment_size: 140
    .language:       OpenCL C
    .language_version:
      - 2
      - 0
    .max_flat_workgroup_size: 1024
    .name:           _ZN9rocsparseL29bsrmm_general_blockdim_kernelILj32ELj32EliaaiiEEvb20rocsparse_direction_T2_S2_llNS_24const_host_device_scalarIT6_EEPKT1_PKS2_PKT3_S2_PKT4_llS5_PT5_ll16rocsparse_order_21rocsparse_index_base_b
    .private_segment_fixed_size: 0
    .sgpr_count:     39
    .sgpr_spill_count: 0
    .symbol:         _ZN9rocsparseL29bsrmm_general_blockdim_kernelILj32ELj32EliaaiiEEvb20rocsparse_direction_T2_S2_llNS_24const_host_device_scalarIT6_EEPKT1_PKS2_PKT3_S2_PKT4_llS5_PT5_ll16rocsparse_order_21rocsparse_index_base_b.kd
    .uniform_work_group_size: 1
    .uses_dynamic_stack: false
    .vgpr_count:     73
    .vgpr_spill_count: 0
    .wavefront_size: 32
    .workgroup_processor_mode: 1
  - .args:
      - .offset:         0
        .size:           1
        .value_kind:     by_value
      - .offset:         4
        .size:           4
        .value_kind:     by_value
      - .offset:         8
        .size:           8
        .value_kind:     by_value
      - .offset:         16
        .size:           8
        .value_kind:     by_value
      - .offset:         24
        .size:           8
        .value_kind:     by_value
      - .offset:         32
        .size:           8
        .value_kind:     by_value
      - .offset:         40
        .size:           8
        .value_kind:     by_value
      - .actual_access:  read_only
        .address_space:  global
        .offset:         48
        .size:           8
        .value_kind:     global_buffer
      - .actual_access:  read_only
        .address_space:  global
        .offset:         56
        .size:           8
        .value_kind:     global_buffer
      - .actual_access:  read_only
        .address_space:  global
        .offset:         64
        .size:           8
        .value_kind:     global_buffer
      - .offset:         72
        .size:           8
        .value_kind:     by_value
      - .actual_access:  read_only
        .address_space:  global
        .offset:         80
        .size:           8
        .value_kind:     global_buffer
      - .offset:         88
        .size:           8
        .value_kind:     by_value
      - .offset:         96
        .size:           8
        .value_kind:     by_value
      - .offset:         104
        .size:           8
        .value_kind:     by_value
      - .address_space:  global
        .offset:         112
        .size:           8
        .value_kind:     global_buffer
      - .offset:         120
        .size:           8
        .value_kind:     by_value
      - .offset:         128
        .size:           8
        .value_kind:     by_value
      - .offset:         136
        .size:           4
        .value_kind:     by_value
      - .offset:         140
        .size:           4
        .value_kind:     by_value
      - .offset:         144
        .size:           1
        .value_kind:     by_value
    .group_segment_fixed_size: 8192
    .kernarg_segment_align: 8
    .kernarg_segment_size: 148
    .language:       OpenCL C
    .language_version:
      - 2
      - 0
    .max_flat_workgroup_size: 1024
    .name:           _ZN9rocsparseL29bsrmm_general_blockdim_kernelILj32ELj32EllaaiiEEvb20rocsparse_direction_T2_S2_llNS_24const_host_device_scalarIT6_EEPKT1_PKS2_PKT3_S2_PKT4_llS5_PT5_ll16rocsparse_order_21rocsparse_index_base_b
    .private_segment_fixed_size: 0
    .sgpr_count:     46
    .sgpr_spill_count: 0
    .symbol:         _ZN9rocsparseL29bsrmm_general_blockdim_kernelILj32ELj32EllaaiiEEvb20rocsparse_direction_T2_S2_llNS_24const_host_device_scalarIT6_EEPKT1_PKS2_PKT3_S2_PKT4_llS5_PT5_ll16rocsparse_order_21rocsparse_index_base_b.kd
    .uniform_work_group_size: 1
    .uses_dynamic_stack: false
    .vgpr_count:     78
    .vgpr_spill_count: 0
    .wavefront_size: 32
    .workgroup_processor_mode: 1
  - .args:
      - .offset:         0
        .size:           1
        .value_kind:     by_value
      - .offset:         4
        .size:           4
        .value_kind:     by_value
      - .offset:         8
        .size:           4
        .value_kind:     by_value
      - .offset:         12
        .size:           4
        .value_kind:     by_value
      - .offset:         16
        .size:           8
        .value_kind:     by_value
      - .offset:         24
        .size:           8
        .value_kind:     by_value
      - .offset:         32
        .size:           8
        .value_kind:     by_value
      - .actual_access:  read_only
        .address_space:  global
        .offset:         40
        .size:           8
        .value_kind:     global_buffer
      - .actual_access:  read_only
        .address_space:  global
        .offset:         48
        .size:           8
        .value_kind:     global_buffer
      - .actual_access:  read_only
        .address_space:  global
        .offset:         56
        .size:           8
        .value_kind:     global_buffer
      - .offset:         64
        .size:           4
        .value_kind:     by_value
      - .actual_access:  read_only
        .address_space:  global
        .offset:         72
        .size:           8
        .value_kind:     global_buffer
      - .offset:         80
        .size:           8
        .value_kind:     by_value
      - .offset:         88
        .size:           8
        .value_kind:     by_value
      - .offset:         96
        .size:           8
        .value_kind:     by_value
      - .address_space:  global
        .offset:         104
        .size:           8
        .value_kind:     global_buffer
      - .offset:         112
        .size:           8
        .value_kind:     by_value
      - .offset:         120
        .size:           8
        .value_kind:     by_value
      - .offset:         128
        .size:           4
        .value_kind:     by_value
      - .offset:         132
        .size:           4
        .value_kind:     by_value
      - .offset:         136
        .size:           1
        .value_kind:     by_value
    .group_segment_fixed_size: 8192
    .kernarg_segment_align: 8
    .kernarg_segment_size: 140
    .language:       OpenCL C
    .language_version:
      - 2
      - 0
    .max_flat_workgroup_size: 1024
    .name:           _ZN9rocsparseL29bsrmm_general_blockdim_kernelILj32ELj32EiiaaffEEvb20rocsparse_direction_T2_S2_llNS_24const_host_device_scalarIT6_EEPKT1_PKS2_PKT3_S2_PKT4_llS5_PT5_ll16rocsparse_order_21rocsparse_index_base_b
    .private_segment_fixed_size: 0
    .sgpr_count:     36
    .sgpr_spill_count: 0
    .symbol:         _ZN9rocsparseL29bsrmm_general_blockdim_kernelILj32ELj32EiiaaffEEvb20rocsparse_direction_T2_S2_llNS_24const_host_device_scalarIT6_EEPKT1_PKS2_PKT3_S2_PKT4_llS5_PT5_ll16rocsparse_order_21rocsparse_index_base_b.kd
    .uniform_work_group_size: 1
    .uses_dynamic_stack: false
    .vgpr_count:     36
    .vgpr_spill_count: 0
    .wavefront_size: 32
    .workgroup_processor_mode: 1
  - .args:
      - .offset:         0
        .size:           1
        .value_kind:     by_value
      - .offset:         4
        .size:           4
        .value_kind:     by_value
      - .offset:         8
        .size:           4
        .value_kind:     by_value
      - .offset:         12
        .size:           4
        .value_kind:     by_value
      - .offset:         16
        .size:           8
        .value_kind:     by_value
      - .offset:         24
        .size:           8
        .value_kind:     by_value
      - .offset:         32
        .size:           8
        .value_kind:     by_value
      - .actual_access:  read_only
        .address_space:  global
        .offset:         40
        .size:           8
        .value_kind:     global_buffer
      - .actual_access:  read_only
        .address_space:  global
        .offset:         48
        .size:           8
        .value_kind:     global_buffer
      - .actual_access:  read_only
        .address_space:  global
        .offset:         56
        .size:           8
        .value_kind:     global_buffer
      - .offset:         64
        .size:           4
        .value_kind:     by_value
      - .actual_access:  read_only
        .address_space:  global
        .offset:         72
        .size:           8
        .value_kind:     global_buffer
      - .offset:         80
        .size:           8
        .value_kind:     by_value
      - .offset:         88
        .size:           8
        .value_kind:     by_value
      - .offset:         96
        .size:           8
        .value_kind:     by_value
      - .address_space:  global
        .offset:         104
        .size:           8
        .value_kind:     global_buffer
      - .offset:         112
        .size:           8
        .value_kind:     by_value
      - .offset:         120
        .size:           8
        .value_kind:     by_value
      - .offset:         128
        .size:           4
        .value_kind:     by_value
      - .offset:         132
        .size:           4
        .value_kind:     by_value
      - .offset:         136
        .size:           1
        .value_kind:     by_value
    .group_segment_fixed_size: 8192
    .kernarg_segment_align: 8
    .kernarg_segment_size: 140
    .language:       OpenCL C
    .language_version:
      - 2
      - 0
    .max_flat_workgroup_size: 1024
    .name:           _ZN9rocsparseL29bsrmm_general_blockdim_kernelILj32ELj32EliaaffEEvb20rocsparse_direction_T2_S2_llNS_24const_host_device_scalarIT6_EEPKT1_PKS2_PKT3_S2_PKT4_llS5_PT5_ll16rocsparse_order_21rocsparse_index_base_b
    .private_segment_fixed_size: 0
    .sgpr_count:     39
    .sgpr_spill_count: 0
    .symbol:         _ZN9rocsparseL29bsrmm_general_blockdim_kernelILj32ELj32EliaaffEEvb20rocsparse_direction_T2_S2_llNS_24const_host_device_scalarIT6_EEPKT1_PKS2_PKT3_S2_PKT4_llS5_PT5_ll16rocsparse_order_21rocsparse_index_base_b.kd
    .uniform_work_group_size: 1
    .uses_dynamic_stack: false
    .vgpr_count:     35
    .vgpr_spill_count: 0
    .wavefront_size: 32
    .workgroup_processor_mode: 1
  - .args:
      - .offset:         0
        .size:           1
        .value_kind:     by_value
      - .offset:         4
        .size:           4
        .value_kind:     by_value
      - .offset:         8
        .size:           8
        .value_kind:     by_value
      - .offset:         16
        .size:           8
        .value_kind:     by_value
      - .offset:         24
        .size:           8
        .value_kind:     by_value
      - .offset:         32
        .size:           8
        .value_kind:     by_value
      - .offset:         40
        .size:           8
        .value_kind:     by_value
      - .actual_access:  read_only
        .address_space:  global
        .offset:         48
        .size:           8
        .value_kind:     global_buffer
      - .actual_access:  read_only
        .address_space:  global
        .offset:         56
        .size:           8
        .value_kind:     global_buffer
      - .actual_access:  read_only
        .address_space:  global
        .offset:         64
        .size:           8
        .value_kind:     global_buffer
      - .offset:         72
        .size:           8
        .value_kind:     by_value
      - .actual_access:  read_only
        .address_space:  global
        .offset:         80
        .size:           8
        .value_kind:     global_buffer
      - .offset:         88
        .size:           8
        .value_kind:     by_value
      - .offset:         96
        .size:           8
        .value_kind:     by_value
      - .offset:         104
        .size:           8
        .value_kind:     by_value
      - .address_space:  global
        .offset:         112
        .size:           8
        .value_kind:     global_buffer
      - .offset:         120
        .size:           8
        .value_kind:     by_value
      - .offset:         128
        .size:           8
        .value_kind:     by_value
      - .offset:         136
        .size:           4
        .value_kind:     by_value
      - .offset:         140
        .size:           4
        .value_kind:     by_value
      - .offset:         144
        .size:           1
        .value_kind:     by_value
    .group_segment_fixed_size: 8192
    .kernarg_segment_align: 8
    .kernarg_segment_size: 148
    .language:       OpenCL C
    .language_version:
      - 2
      - 0
    .max_flat_workgroup_size: 1024
    .name:           _ZN9rocsparseL29bsrmm_general_blockdim_kernelILj32ELj32EllaaffEEvb20rocsparse_direction_T2_S2_llNS_24const_host_device_scalarIT6_EEPKT1_PKS2_PKT3_S2_PKT4_llS5_PT5_ll16rocsparse_order_21rocsparse_index_base_b
    .private_segment_fixed_size: 0
    .sgpr_count:     46
    .sgpr_spill_count: 0
    .symbol:         _ZN9rocsparseL29bsrmm_general_blockdim_kernelILj32ELj32EllaaffEEvb20rocsparse_direction_T2_S2_llNS_24const_host_device_scalarIT6_EEPKT1_PKS2_PKT3_S2_PKT4_llS5_PT5_ll16rocsparse_order_21rocsparse_index_base_b.kd
    .uniform_work_group_size: 1
    .uses_dynamic_stack: false
    .vgpr_count:     42
    .vgpr_spill_count: 0
    .wavefront_size: 32
    .workgroup_processor_mode: 1
amdhsa.target:   amdgcn-amd-amdhsa--gfx1100
amdhsa.version:
  - 1
  - 2
...

	.end_amdgpu_metadata
